;; amdgpu-corpus repo=ROCm/rocFFT kind=compiled arch=gfx906 opt=O3
	.text
	.amdgcn_target "amdgcn-amd-amdhsa--gfx906"
	.amdhsa_code_object_version 6
	.protected	fft_rtc_fwd_len1782_factors_11_3_3_3_3_2_wgs_99_tpt_99_halfLds_dp_op_CI_CI_unitstride_sbrr_C2R_dirReg ; -- Begin function fft_rtc_fwd_len1782_factors_11_3_3_3_3_2_wgs_99_tpt_99_halfLds_dp_op_CI_CI_unitstride_sbrr_C2R_dirReg
	.globl	fft_rtc_fwd_len1782_factors_11_3_3_3_3_2_wgs_99_tpt_99_halfLds_dp_op_CI_CI_unitstride_sbrr_C2R_dirReg
	.p2align	8
	.type	fft_rtc_fwd_len1782_factors_11_3_3_3_3_2_wgs_99_tpt_99_halfLds_dp_op_CI_CI_unitstride_sbrr_C2R_dirReg,@function
fft_rtc_fwd_len1782_factors_11_3_3_3_3_2_wgs_99_tpt_99_halfLds_dp_op_CI_CI_unitstride_sbrr_C2R_dirReg: ; @fft_rtc_fwd_len1782_factors_11_3_3_3_3_2_wgs_99_tpt_99_halfLds_dp_op_CI_CI_unitstride_sbrr_C2R_dirReg
; %bb.0:
	s_load_dwordx4 s[8:11], s[4:5], 0x58
	s_load_dwordx4 s[12:15], s[4:5], 0x0
	;; [unrolled: 1-line block ×3, first 2 shown]
	v_mul_u32_u24_e32 v1, 0x296, v0
	v_add_u32_sdwa v5, s6, v1 dst_sel:DWORD dst_unused:UNUSED_PAD src0_sel:DWORD src1_sel:WORD_1
	v_mov_b32_e32 v3, 0
	s_waitcnt lgkmcnt(0)
	v_cmp_lt_u64_e64 s[0:1], s[14:15], 2
	v_mov_b32_e32 v1, 0
	v_mov_b32_e32 v6, v3
	s_and_b64 vcc, exec, s[0:1]
	v_mov_b32_e32 v2, 0
	s_cbranch_vccnz .LBB0_8
; %bb.1:
	s_load_dwordx2 s[0:1], s[4:5], 0x10
	s_add_u32 s2, s18, 8
	s_addc_u32 s3, s19, 0
	s_add_u32 s6, s16, 8
	v_mov_b32_e32 v1, 0
	s_addc_u32 s7, s17, 0
	v_mov_b32_e32 v2, 0
	s_waitcnt lgkmcnt(0)
	s_add_u32 s20, s0, 8
	v_mov_b32_e32 v61, v2
	s_addc_u32 s21, s1, 0
	s_mov_b64 s[22:23], 1
	v_mov_b32_e32 v60, v1
.LBB0_2:                                ; =>This Inner Loop Header: Depth=1
	s_load_dwordx2 s[24:25], s[20:21], 0x0
                                        ; implicit-def: $vgpr62_vgpr63
	s_waitcnt lgkmcnt(0)
	v_or_b32_e32 v4, s25, v6
	v_cmp_ne_u64_e32 vcc, 0, v[3:4]
	s_and_saveexec_b64 s[0:1], vcc
	s_xor_b64 s[26:27], exec, s[0:1]
	s_cbranch_execz .LBB0_4
; %bb.3:                                ;   in Loop: Header=BB0_2 Depth=1
	v_cvt_f32_u32_e32 v4, s24
	v_cvt_f32_u32_e32 v7, s25
	s_sub_u32 s0, 0, s24
	s_subb_u32 s1, 0, s25
	v_mac_f32_e32 v4, 0x4f800000, v7
	v_rcp_f32_e32 v4, v4
	v_mul_f32_e32 v4, 0x5f7ffffc, v4
	v_mul_f32_e32 v7, 0x2f800000, v4
	v_trunc_f32_e32 v7, v7
	v_mac_f32_e32 v4, 0xcf800000, v7
	v_cvt_u32_f32_e32 v7, v7
	v_cvt_u32_f32_e32 v4, v4
	v_mul_lo_u32 v8, s0, v7
	v_mul_hi_u32 v9, s0, v4
	v_mul_lo_u32 v11, s1, v4
	v_mul_lo_u32 v10, s0, v4
	v_add_u32_e32 v8, v9, v8
	v_add_u32_e32 v8, v8, v11
	v_mul_hi_u32 v9, v4, v10
	v_mul_lo_u32 v11, v4, v8
	v_mul_hi_u32 v13, v4, v8
	v_mul_hi_u32 v12, v7, v10
	v_mul_lo_u32 v10, v7, v10
	v_mul_hi_u32 v14, v7, v8
	v_add_co_u32_e32 v9, vcc, v9, v11
	v_addc_co_u32_e32 v11, vcc, 0, v13, vcc
	v_mul_lo_u32 v8, v7, v8
	v_add_co_u32_e32 v9, vcc, v9, v10
	v_addc_co_u32_e32 v9, vcc, v11, v12, vcc
	v_addc_co_u32_e32 v10, vcc, 0, v14, vcc
	v_add_co_u32_e32 v8, vcc, v9, v8
	v_addc_co_u32_e32 v9, vcc, 0, v10, vcc
	v_add_co_u32_e32 v4, vcc, v4, v8
	v_addc_co_u32_e32 v7, vcc, v7, v9, vcc
	v_mul_lo_u32 v8, s0, v7
	v_mul_hi_u32 v9, s0, v4
	v_mul_lo_u32 v10, s1, v4
	v_mul_lo_u32 v11, s0, v4
	v_add_u32_e32 v8, v9, v8
	v_add_u32_e32 v8, v8, v10
	v_mul_lo_u32 v12, v4, v8
	v_mul_hi_u32 v13, v4, v11
	v_mul_hi_u32 v14, v4, v8
	v_mul_hi_u32 v10, v7, v11
	v_mul_lo_u32 v11, v7, v11
	v_mul_hi_u32 v9, v7, v8
	v_add_co_u32_e32 v12, vcc, v13, v12
	v_addc_co_u32_e32 v13, vcc, 0, v14, vcc
	v_mul_lo_u32 v8, v7, v8
	v_add_co_u32_e32 v11, vcc, v12, v11
	v_addc_co_u32_e32 v10, vcc, v13, v10, vcc
	v_addc_co_u32_e32 v9, vcc, 0, v9, vcc
	v_add_co_u32_e32 v8, vcc, v10, v8
	v_addc_co_u32_e32 v9, vcc, 0, v9, vcc
	v_add_co_u32_e32 v4, vcc, v4, v8
	v_addc_co_u32_e32 v9, vcc, v7, v9, vcc
	v_mad_u64_u32 v[7:8], s[0:1], v5, v9, 0
	v_mul_hi_u32 v10, v5, v4
	v_add_co_u32_e32 v11, vcc, v10, v7
	v_addc_co_u32_e32 v12, vcc, 0, v8, vcc
	v_mad_u64_u32 v[7:8], s[0:1], v6, v4, 0
	v_mad_u64_u32 v[9:10], s[0:1], v6, v9, 0
	v_add_co_u32_e32 v4, vcc, v11, v7
	v_addc_co_u32_e32 v4, vcc, v12, v8, vcc
	v_addc_co_u32_e32 v7, vcc, 0, v10, vcc
	v_add_co_u32_e32 v4, vcc, v4, v9
	v_addc_co_u32_e32 v9, vcc, 0, v7, vcc
	v_mul_lo_u32 v10, s25, v4
	v_mul_lo_u32 v11, s24, v9
	v_mad_u64_u32 v[7:8], s[0:1], s24, v4, 0
	v_add3_u32 v8, v8, v11, v10
	v_sub_u32_e32 v10, v6, v8
	v_mov_b32_e32 v11, s25
	v_sub_co_u32_e32 v7, vcc, v5, v7
	v_subb_co_u32_e64 v10, s[0:1], v10, v11, vcc
	v_subrev_co_u32_e64 v11, s[0:1], s24, v7
	v_subbrev_co_u32_e64 v10, s[0:1], 0, v10, s[0:1]
	v_cmp_le_u32_e64 s[0:1], s25, v10
	v_cndmask_b32_e64 v12, 0, -1, s[0:1]
	v_cmp_le_u32_e64 s[0:1], s24, v11
	v_cndmask_b32_e64 v11, 0, -1, s[0:1]
	v_cmp_eq_u32_e64 s[0:1], s25, v10
	v_cndmask_b32_e64 v10, v12, v11, s[0:1]
	v_add_co_u32_e64 v11, s[0:1], 2, v4
	v_addc_co_u32_e64 v12, s[0:1], 0, v9, s[0:1]
	v_add_co_u32_e64 v13, s[0:1], 1, v4
	v_addc_co_u32_e64 v14, s[0:1], 0, v9, s[0:1]
	v_subb_co_u32_e32 v8, vcc, v6, v8, vcc
	v_cmp_ne_u32_e64 s[0:1], 0, v10
	v_cmp_le_u32_e32 vcc, s25, v8
	v_cndmask_b32_e64 v10, v14, v12, s[0:1]
	v_cndmask_b32_e64 v12, 0, -1, vcc
	v_cmp_le_u32_e32 vcc, s24, v7
	v_cndmask_b32_e64 v7, 0, -1, vcc
	v_cmp_eq_u32_e32 vcc, s25, v8
	v_cndmask_b32_e32 v7, v12, v7, vcc
	v_cmp_ne_u32_e32 vcc, 0, v7
	v_cndmask_b32_e64 v7, v13, v11, s[0:1]
	v_cndmask_b32_e32 v63, v9, v10, vcc
	v_cndmask_b32_e32 v62, v4, v7, vcc
.LBB0_4:                                ;   in Loop: Header=BB0_2 Depth=1
	s_andn2_saveexec_b64 s[0:1], s[26:27]
	s_cbranch_execz .LBB0_6
; %bb.5:                                ;   in Loop: Header=BB0_2 Depth=1
	v_cvt_f32_u32_e32 v4, s24
	s_sub_i32 s26, 0, s24
	v_mov_b32_e32 v63, v3
	v_rcp_iflag_f32_e32 v4, v4
	v_mul_f32_e32 v4, 0x4f7ffffe, v4
	v_cvt_u32_f32_e32 v4, v4
	v_mul_lo_u32 v7, s26, v4
	v_mul_hi_u32 v7, v4, v7
	v_add_u32_e32 v4, v4, v7
	v_mul_hi_u32 v4, v5, v4
	v_mul_lo_u32 v7, v4, s24
	v_add_u32_e32 v8, 1, v4
	v_sub_u32_e32 v7, v5, v7
	v_subrev_u32_e32 v9, s24, v7
	v_cmp_le_u32_e32 vcc, s24, v7
	v_cndmask_b32_e32 v7, v7, v9, vcc
	v_cndmask_b32_e32 v4, v4, v8, vcc
	v_add_u32_e32 v8, 1, v4
	v_cmp_le_u32_e32 vcc, s24, v7
	v_cndmask_b32_e32 v62, v4, v8, vcc
.LBB0_6:                                ;   in Loop: Header=BB0_2 Depth=1
	s_or_b64 exec, exec, s[0:1]
	v_mul_lo_u32 v4, v63, s24
	v_mul_lo_u32 v9, v62, s25
	v_mad_u64_u32 v[7:8], s[0:1], v62, s24, 0
	s_load_dwordx2 s[0:1], s[6:7], 0x0
	s_load_dwordx2 s[24:25], s[2:3], 0x0
	v_add3_u32 v4, v8, v9, v4
	v_sub_co_u32_e32 v5, vcc, v5, v7
	v_subb_co_u32_e32 v4, vcc, v6, v4, vcc
	s_waitcnt lgkmcnt(0)
	v_mul_lo_u32 v6, s0, v4
	v_mul_lo_u32 v7, s1, v5
	v_mad_u64_u32 v[1:2], s[0:1], s0, v5, v[1:2]
	v_mul_lo_u32 v4, s24, v4
	v_mul_lo_u32 v8, s25, v5
	v_mad_u64_u32 v[60:61], s[0:1], s24, v5, v[60:61]
	s_add_u32 s22, s22, 1
	s_addc_u32 s23, s23, 0
	s_add_u32 s2, s2, 8
	v_add3_u32 v61, v8, v61, v4
	s_addc_u32 s3, s3, 0
	v_mov_b32_e32 v4, s14
	s_add_u32 s6, s6, 8
	v_mov_b32_e32 v5, s15
	s_addc_u32 s7, s7, 0
	v_cmp_ge_u64_e32 vcc, s[22:23], v[4:5]
	s_add_u32 s20, s20, 8
	v_add3_u32 v2, v7, v2, v6
	s_addc_u32 s21, s21, 0
	s_cbranch_vccnz .LBB0_9
; %bb.7:                                ;   in Loop: Header=BB0_2 Depth=1
	v_mov_b32_e32 v5, v62
	v_mov_b32_e32 v6, v63
	s_branch .LBB0_2
.LBB0_8:
	v_mov_b32_e32 v61, v2
	v_mov_b32_e32 v63, v6
	;; [unrolled: 1-line block ×4, first 2 shown]
.LBB0_9:
	s_load_dwordx2 s[4:5], s[4:5], 0x28
	s_lshl_b64 s[6:7], s[14:15], 3
	s_add_u32 s2, s18, s6
	s_addc_u32 s3, s19, s7
                                        ; implicit-def: $vgpr69
                                        ; implicit-def: $vgpr4_vgpr5
	s_waitcnt lgkmcnt(0)
	v_cmp_gt_u64_e64 s[0:1], s[4:5], v[62:63]
	v_cmp_le_u64_e32 vcc, s[4:5], v[62:63]
	s_and_saveexec_b64 s[4:5], vcc
	s_xor_b64 s[4:5], exec, s[4:5]
; %bb.10:
	s_mov_b32 s14, 0x295fad5
	v_mul_hi_u32 v1, v0, s14
	v_mov_b32_e32 v70, 0
	v_mul_u32_u24_e32 v1, 0x63, v1
	v_sub_u32_e32 v69, v0, v1
	v_mov_b32_e32 v4, v69
	v_mov_b32_e32 v5, v70
                                        ; implicit-def: $vgpr0
                                        ; implicit-def: $vgpr1_vgpr2
; %bb.11:
	s_or_saveexec_b64 s[4:5], s[4:5]
	s_load_dwordx2 s[2:3], s[2:3], 0x0
                                        ; implicit-def: $vgpr64
	s_xor_b64 exec, exec, s[4:5]
	s_cbranch_execz .LBB0_15
; %bb.12:
	s_add_u32 s6, s16, s6
	s_addc_u32 s7, s17, s7
	s_load_dwordx2 s[6:7], s[6:7], 0x0
	s_mov_b32 s14, 0x295fad5
	v_mul_hi_u32 v5, v0, s14
	v_lshlrev_b64 v[1:2], 4, v[1:2]
	v_mov_b32_e32 v70, 0
	s_waitcnt lgkmcnt(0)
	v_mul_lo_u32 v6, s7, v62
	v_mul_lo_u32 v7, s6, v63
	v_mad_u64_u32 v[3:4], s[6:7], s6, v62, 0
	v_mul_u32_u24_e32 v5, 0x63, v5
	v_sub_u32_e32 v69, v0, v5
	v_add3_u32 v4, v4, v7, v6
	v_lshlrev_b64 v[3:4], 4, v[3:4]
	v_mov_b32_e32 v0, s9
	v_add_co_u32_e32 v3, vcc, s8, v3
	v_addc_co_u32_e32 v0, vcc, v0, v4, vcc
	v_add_co_u32_e32 v1, vcc, v3, v1
	v_addc_co_u32_e32 v0, vcc, v0, v2, vcc
	v_lshlrev_b32_e32 v59, 4, v69
	v_add_co_u32_e32 v57, vcc, v1, v59
	v_addc_co_u32_e32 v58, vcc, 0, v0, vcc
	s_movk_i32 s6, 0x1000
	v_add_co_u32_e32 v26, vcc, s6, v57
	v_addc_co_u32_e32 v27, vcc, 0, v58, vcc
	s_movk_i32 s6, 0x2000
	;; [unrolled: 3-line block ×5, first 2 shown]
	v_add_co_u32_e32 v77, vcc, s6, v57
	v_addc_co_u32_e32 v78, vcc, 0, v58, vcc
	v_add_co_u32_e32 v83, vcc, 0x6000, v57
	v_addc_co_u32_e32 v84, vcc, 0, v58, vcc
	global_load_dwordx4 v[2:5], v[57:58], off
	global_load_dwordx4 v[6:9], v[57:58], off offset:1584
	global_load_dwordx4 v[10:13], v[57:58], off offset:3168
	;; [unrolled: 1-line block ×5, first 2 shown]
	s_nop 0
	global_load_dwordx4 v[26:29], v[34:35], off offset:1312
	global_load_dwordx4 v[30:33], v[34:35], off offset:2896
	s_nop 0
	global_load_dwordx4 v[34:37], v[50:51], off offset:384
	global_load_dwordx4 v[38:41], v[50:51], off offset:1968
	global_load_dwordx4 v[42:45], v[50:51], off offset:3552
	global_load_dwordx4 v[46:49], v[75:76], off offset:1040
	s_nop 0
	global_load_dwordx4 v[50:53], v[75:76], off offset:2624
	global_load_dwordx4 v[54:57], v[77:78], off offset:112
	global_load_dwordx4 v[64:67], v[77:78], off offset:1696
	global_load_dwordx4 v[71:74], v[77:78], off offset:3280
	s_nop 0
	global_load_dwordx4 v[75:78], v[83:84], off offset:768
	global_load_dwordx4 v[79:82], v[83:84], off offset:2352
	v_add_u32_e32 v58, 0, v59
	s_movk_i32 s6, 0x62
	v_cmp_eq_u32_e32 vcc, s6, v69
	s_waitcnt vmcnt(17)
	ds_write_b128 v58, v[2:5]
	s_waitcnt vmcnt(16)
	ds_write_b128 v58, v[6:9] offset:1584
	s_waitcnt vmcnt(15)
	ds_write_b128 v58, v[10:13] offset:3168
	;; [unrolled: 2-line block ×17, first 2 shown]
	v_mov_b32_e32 v4, v69
	v_mov_b32_e32 v5, v70
	s_and_saveexec_b64 s[6:7], vcc
	s_cbranch_execz .LBB0_14
; %bb.13:
	v_add_co_u32_e32 v1, vcc, 0x6000, v1
	v_addc_co_u32_e32 v2, vcc, 0, v0, vcc
	global_load_dwordx4 v[0:3], v[1:2], off offset:3936
	v_mov_b32_e32 v4, 0x62
	v_mov_b32_e32 v5, 0
	;; [unrolled: 1-line block ×3, first 2 shown]
	s_waitcnt vmcnt(0)
	ds_write_b128 v70, v[0:3] offset:28512
.LBB0_14:
	s_or_b64 exec, exec, s[6:7]
	v_mov_b32_e32 v64, v69
.LBB0_15:
	s_or_b64 exec, exec, s[4:5]
	v_lshlrev_b32_e32 v0, 4, v69
	v_add_u32_e32 v111, 0, v0
	s_waitcnt lgkmcnt(0)
	s_barrier
	v_sub_u32_e32 v18, 0, v0
	ds_read_b64 v[6:7], v111
	ds_read_b64 v[8:9], v18 offset:28512
	s_add_u32 s6, s12, 0x6eb0
	v_lshlrev_b64 v[65:66], 4, v[4:5]
	s_addc_u32 s7, s13, 0
	v_cmp_ne_u32_e32 vcc, 0, v69
	s_waitcnt lgkmcnt(0)
	v_add_f64 v[0:1], v[6:7], v[8:9]
	v_add_f64 v[2:3], v[6:7], -v[8:9]
	s_and_saveexec_b64 s[4:5], vcc
	s_xor_b64 s[4:5], exec, s[4:5]
	s_cbranch_execz .LBB0_17
; %bb.16:
	v_mov_b32_e32 v1, s7
	v_add_co_u32_e32 v0, vcc, s6, v65
	v_addc_co_u32_e32 v1, vcc, v1, v66, vcc
	global_load_dwordx4 v[2:5], v[0:1], off
	ds_read_b64 v[0:1], v18 offset:28520
	ds_read_b64 v[10:11], v111 offset:8
	v_add_f64 v[12:13], v[6:7], v[8:9]
	v_add_f64 v[8:9], v[6:7], -v[8:9]
	s_waitcnt lgkmcnt(0)
	v_add_f64 v[6:7], v[0:1], v[10:11]
	v_add_f64 v[0:1], v[10:11], -v[0:1]
	s_waitcnt vmcnt(0)
	v_fma_f64 v[10:11], v[8:9], v[4:5], v[12:13]
	v_fma_f64 v[12:13], -v[8:9], v[4:5], v[12:13]
	v_fma_f64 v[14:15], v[6:7], v[4:5], -v[0:1]
	v_fma_f64 v[16:17], v[6:7], v[4:5], v[0:1]
	v_fma_f64 v[0:1], -v[6:7], v[2:3], v[10:11]
	v_fma_f64 v[4:5], v[6:7], v[2:3], v[12:13]
	v_fma_f64 v[6:7], v[8:9], v[2:3], v[14:15]
	;; [unrolled: 1-line block ×3, first 2 shown]
	ds_write_b128 v18, v[4:7] offset:28512
.LBB0_17:
	s_andn2_saveexec_b64 s[4:5], s[4:5]
	s_cbranch_execz .LBB0_19
; %bb.18:
	v_mov_b32_e32 v8, 0
	ds_read_b128 v[4:7], v8 offset:14256
	s_waitcnt lgkmcnt(0)
	v_add_f64 v[4:5], v[4:5], v[4:5]
	v_mul_f64 v[6:7], v[6:7], -2.0
	ds_write_b128 v8, v[4:7] offset:14256
.LBB0_19:
	s_or_b64 exec, exec, s[4:5]
	v_mov_b32_e32 v70, 0
	v_lshlrev_b64 v[67:68], 4, v[69:70]
	v_mov_b32_e32 v4, s7
	v_add_co_u32_e32 v8, vcc, s6, v67
	v_addc_co_u32_e32 v9, vcc, v4, v68, vcc
	global_load_dwordx4 v[4:7], v[8:9], off offset:1584
	global_load_dwordx4 v[10:13], v[8:9], off offset:3168
	s_movk_i32 s42, 0x1000
	v_add_co_u32_e32 v23, vcc, s42, v8
	ds_write_b128 v111, v[0:3]
	v_addc_co_u32_e32 v24, vcc, 0, v9, vcc
	ds_read_b128 v[0:3], v111 offset:1584
	ds_read_b128 v[14:17], v18 offset:26928
	global_load_dwordx4 v[19:22], v[23:24], off offset:656
	s_movk_i32 s4, 0x2000
	s_movk_i32 s33, 0x3000
	s_mov_b32 s26, 0xf8bb580b
	s_waitcnt lgkmcnt(0)
	v_add_f64 v[25:26], v[0:1], v[14:15]
	v_add_f64 v[27:28], v[16:17], v[2:3]
	v_add_f64 v[29:30], v[0:1], -v[14:15]
	v_add_f64 v[0:1], v[2:3], -v[16:17]
	s_mov_b32 s24, 0x8eee2c13
	s_mov_b32 s20, 0x43842ef
	;; [unrolled: 1-line block ×25, first 2 shown]
	s_movk_i32 s38, 0xb0
	s_waitcnt vmcnt(2)
	v_fma_f64 v[2:3], v[29:30], v[6:7], v[25:26]
	v_fma_f64 v[14:15], v[27:28], v[6:7], v[0:1]
	v_fma_f64 v[16:17], -v[29:30], v[6:7], v[25:26]
	v_fma_f64 v[6:7], v[27:28], v[6:7], -v[0:1]
	v_fma_f64 v[0:1], -v[27:28], v[4:5], v[2:3]
	v_fma_f64 v[2:3], v[29:30], v[4:5], v[14:15]
	v_fma_f64 v[14:15], v[27:28], v[4:5], v[16:17]
	;; [unrolled: 1-line block ×3, first 2 shown]
	ds_write_b128 v111, v[0:3] offset:1584
	ds_write_b128 v18, v[14:17] offset:26928
	ds_read_b128 v[0:3], v111 offset:3168
	ds_read_b128 v[4:7], v18 offset:25344
	global_load_dwordx4 v[14:17], v[23:24], off offset:2240
	s_waitcnt lgkmcnt(0)
	v_add_f64 v[25:26], v[0:1], v[4:5]
	v_add_f64 v[27:28], v[6:7], v[2:3]
	v_add_f64 v[29:30], v[0:1], -v[4:5]
	v_add_f64 v[0:1], v[2:3], -v[6:7]
	s_waitcnt vmcnt(2)
	v_fma_f64 v[2:3], v[29:30], v[12:13], v[25:26]
	v_fma_f64 v[4:5], v[27:28], v[12:13], v[0:1]
	v_fma_f64 v[6:7], -v[29:30], v[12:13], v[25:26]
	v_fma_f64 v[12:13], v[27:28], v[12:13], -v[0:1]
	v_fma_f64 v[0:1], -v[27:28], v[10:11], v[2:3]
	v_fma_f64 v[2:3], v[29:30], v[10:11], v[4:5]
	v_fma_f64 v[4:5], v[27:28], v[10:11], v[6:7]
	;; [unrolled: 1-line block ×3, first 2 shown]
	ds_write_b128 v111, v[0:3] offset:3168
	ds_write_b128 v18, v[4:7] offset:25344
	ds_read_b128 v[0:3], v111 offset:4752
	ds_read_b128 v[4:7], v18 offset:23760
	global_load_dwordx4 v[10:13], v[23:24], off offset:3824
	s_waitcnt lgkmcnt(0)
	v_add_f64 v[23:24], v[0:1], v[4:5]
	v_add_f64 v[25:26], v[6:7], v[2:3]
	v_add_f64 v[27:28], v[0:1], -v[4:5]
	v_add_f64 v[0:1], v[2:3], -v[6:7]
	s_waitcnt vmcnt(2)
	v_fma_f64 v[2:3], v[27:28], v[21:22], v[23:24]
	v_fma_f64 v[4:5], v[25:26], v[21:22], v[0:1]
	v_fma_f64 v[6:7], -v[27:28], v[21:22], v[23:24]
	v_fma_f64 v[21:22], v[25:26], v[21:22], -v[0:1]
	v_add_co_u32_e32 v23, vcc, s4, v8
	v_addc_co_u32_e32 v24, vcc, 0, v9, vcc
	v_fma_f64 v[0:1], -v[25:26], v[19:20], v[2:3]
	v_fma_f64 v[2:3], v[27:28], v[19:20], v[4:5]
	v_fma_f64 v[4:5], v[25:26], v[19:20], v[6:7]
	;; [unrolled: 1-line block ×3, first 2 shown]
	ds_write_b128 v111, v[0:3] offset:4752
	ds_write_b128 v18, v[4:7] offset:23760
	ds_read_b128 v[0:3], v111 offset:6336
	ds_read_b128 v[4:7], v18 offset:22176
	global_load_dwordx4 v[19:22], v[23:24], off offset:1312
	s_mov_b32 s4, 0x9bcd5057
	s_mov_b32 s5, 0xbfeeb42a
	s_waitcnt lgkmcnt(0)
	v_add_f64 v[25:26], v[0:1], v[4:5]
	v_add_f64 v[27:28], v[6:7], v[2:3]
	v_add_f64 v[29:30], v[0:1], -v[4:5]
	v_add_f64 v[0:1], v[2:3], -v[6:7]
	s_waitcnt vmcnt(2)
	v_fma_f64 v[2:3], v[29:30], v[16:17], v[25:26]
	v_fma_f64 v[4:5], v[27:28], v[16:17], v[0:1]
	v_fma_f64 v[6:7], -v[29:30], v[16:17], v[25:26]
	v_fma_f64 v[16:17], v[27:28], v[16:17], -v[0:1]
	v_fma_f64 v[0:1], -v[27:28], v[14:15], v[2:3]
	v_fma_f64 v[2:3], v[29:30], v[14:15], v[4:5]
	v_fma_f64 v[4:5], v[27:28], v[14:15], v[6:7]
	;; [unrolled: 1-line block ×3, first 2 shown]
	ds_write_b128 v111, v[0:3] offset:6336
	ds_write_b128 v18, v[4:7] offset:22176
	ds_read_b128 v[0:3], v111 offset:7920
	ds_read_b128 v[14:17], v18 offset:20592
	global_load_dwordx4 v[4:7], v[23:24], off offset:2896
	s_waitcnt lgkmcnt(0)
	v_add_f64 v[23:24], v[0:1], v[14:15]
	v_add_f64 v[25:26], v[16:17], v[2:3]
	v_add_f64 v[14:15], v[0:1], -v[14:15]
	v_add_f64 v[0:1], v[2:3], -v[16:17]
	s_waitcnt vmcnt(2)
	v_fma_f64 v[2:3], v[14:15], v[12:13], v[23:24]
	v_fma_f64 v[16:17], v[25:26], v[12:13], v[0:1]
	v_fma_f64 v[23:24], -v[14:15], v[12:13], v[23:24]
	v_fma_f64 v[27:28], v[25:26], v[12:13], -v[0:1]
	v_fma_f64 v[0:1], -v[25:26], v[10:11], v[2:3]
	v_fma_f64 v[2:3], v[14:15], v[10:11], v[16:17]
	v_fma_f64 v[12:13], v[25:26], v[10:11], v[23:24]
	;; [unrolled: 1-line block ×3, first 2 shown]
	ds_write_b128 v111, v[0:3] offset:7920
	ds_write_b128 v18, v[12:15] offset:20592
	v_add_co_u32_e32 v0, vcc, s33, v8
	v_addc_co_u32_e32 v1, vcc, 0, v9, vcc
	ds_read_b128 v[10:13], v111 offset:9504
	ds_read_b128 v[14:17], v18 offset:19008
	global_load_dwordx4 v[0:3], v[0:1], off offset:384
	v_cmp_gt_u32_e32 vcc, 63, v69
	s_waitcnt lgkmcnt(0)
	v_add_f64 v[8:9], v[10:11], v[14:15]
	v_add_f64 v[23:24], v[16:17], v[12:13]
	v_add_f64 v[14:15], v[10:11], -v[14:15]
	v_add_f64 v[10:11], v[12:13], -v[16:17]
	s_waitcnt vmcnt(2)
	v_fma_f64 v[12:13], v[14:15], v[21:22], v[8:9]
	v_fma_f64 v[16:17], v[23:24], v[21:22], v[10:11]
	v_fma_f64 v[25:26], -v[14:15], v[21:22], v[8:9]
	v_fma_f64 v[21:22], v[23:24], v[21:22], -v[10:11]
	v_fma_f64 v[8:9], -v[23:24], v[19:20], v[12:13]
	v_fma_f64 v[10:11], v[14:15], v[19:20], v[16:17]
	v_fma_f64 v[12:13], v[23:24], v[19:20], v[25:26]
	;; [unrolled: 1-line block ×3, first 2 shown]
	ds_write_b128 v111, v[8:11] offset:9504
	ds_write_b128 v18, v[12:15] offset:19008
	ds_read_b128 v[10:13], v111 offset:11088
	ds_read_b128 v[14:17], v18 offset:17424
	s_waitcnt lgkmcnt(0)
	v_add_f64 v[19:20], v[10:11], v[14:15]
	v_add_f64 v[8:9], v[16:17], v[12:13]
	v_add_f64 v[10:11], v[10:11], -v[14:15]
	v_add_f64 v[21:22], v[12:13], -v[16:17]
	s_waitcnt vmcnt(1)
	v_fma_f64 v[12:13], v[10:11], v[6:7], v[19:20]
	v_fma_f64 v[14:15], v[8:9], v[6:7], v[21:22]
	v_fma_f64 v[16:17], -v[10:11], v[6:7], v[19:20]
	v_fma_f64 v[6:7], v[8:9], v[6:7], -v[21:22]
	v_fma_f64 v[12:13], -v[8:9], v[4:5], v[12:13]
	v_fma_f64 v[14:15], v[10:11], v[4:5], v[14:15]
	v_fma_f64 v[8:9], v[8:9], v[4:5], v[16:17]
	;; [unrolled: 1-line block ×3, first 2 shown]
	ds_write_b128 v111, v[12:15] offset:11088
	ds_write_b128 v18, v[8:11] offset:17424
	ds_read_b128 v[4:7], v111 offset:12672
	ds_read_b128 v[8:11], v18 offset:15840
	s_waitcnt lgkmcnt(0)
	v_add_f64 v[12:13], v[4:5], v[8:9]
	v_add_f64 v[14:15], v[10:11], v[6:7]
	v_add_f64 v[8:9], v[4:5], -v[8:9]
	v_add_f64 v[4:5], v[6:7], -v[10:11]
	s_waitcnt vmcnt(0)
	v_fma_f64 v[6:7], v[8:9], v[2:3], v[12:13]
	v_fma_f64 v[10:11], v[14:15], v[2:3], v[4:5]
	v_fma_f64 v[12:13], -v[8:9], v[2:3], v[12:13]
	v_fma_f64 v[16:17], v[14:15], v[2:3], -v[4:5]
	v_fma_f64 v[2:3], -v[14:15], v[0:1], v[6:7]
	v_fma_f64 v[4:5], v[8:9], v[0:1], v[10:11]
	v_fma_f64 v[6:7], v[14:15], v[0:1], v[12:13]
	v_fma_f64 v[8:9], v[8:9], v[0:1], v[16:17]
	ds_write_b128 v111, v[2:5] offset:12672
	ds_write_b128 v18, v[6:9] offset:15840
	s_waitcnt lgkmcnt(0)
	s_barrier
	s_barrier
	ds_read_b128 v[44:47], v111
	ds_read_b128 v[0:3], v111 offset:1584
	ds_read_b128 v[48:51], v111 offset:2592
	;; [unrolled: 1-line block ×21, first 2 shown]
	s_waitcnt lgkmcnt(14)
	v_add_f64 v[99:100], v[44:45], v[48:49]
	v_add_f64 v[101:102], v[46:47], v[50:51]
	s_waitcnt lgkmcnt(3)
	v_add_f64 v[128:129], v[52:53], v[91:92]
	v_add_f64 v[130:131], v[54:55], v[93:94]
	s_waitcnt lgkmcnt(1)
	v_add_f64 v[132:133], v[50:51], -v[97:98]
	v_add_f64 v[134:135], v[52:53], -v[91:92]
	;; [unrolled: 1-line block ×3, first 2 shown]
	v_add_f64 v[138:139], v[48:49], v[95:96]
	v_add_f64 v[48:49], v[48:49], -v[95:96]
	v_add_f64 v[52:53], v[99:100], v[52:53]
	v_add_f64 v[54:55], v[101:102], v[54:55]
	;; [unrolled: 1-line block ×3, first 2 shown]
	v_mul_f64 v[99:100], v[132:133], s[26:27]
	v_mul_f64 v[101:102], v[132:133], s[24:25]
	v_mul_f64 v[140:141], v[132:133], s[20:21]
	v_mul_f64 v[142:143], v[132:133], s[18:19]
	v_mul_f64 v[132:133], v[132:133], s[6:7]
	v_mul_f64 v[144:145], v[48:49], s[26:27]
	v_mul_f64 v[146:147], v[48:49], s[24:25]
	v_mul_f64 v[148:149], v[48:49], s[20:21]
	v_mul_f64 v[150:151], v[48:49], s[18:19]
	v_mul_f64 v[48:49], v[48:49], s[6:7]
	v_add_f64 v[52:53], v[52:53], v[56:57]
	v_add_f64 v[54:55], v[54:55], v[58:59]
	;; [unrolled: 1-line block ×4, first 2 shown]
	v_add_f64 v[124:125], v[56:57], -v[87:88]
	v_add_f64 v[126:127], v[58:59], -v[89:90]
	v_mul_f64 v[152:153], v[136:137], s[24:25]
	v_mul_f64 v[154:155], v[134:135], s[24:25]
	;; [unrolled: 1-line block ×4, first 2 shown]
	v_fma_f64 v[56:57], v[138:139], s[22:23], -v[99:100]
	v_fma_f64 v[58:59], v[138:139], s[22:23], v[99:100]
	v_fma_f64 v[99:100], v[138:139], s[16:17], -v[101:102]
	v_fma_f64 v[101:102], v[138:139], s[16:17], v[101:102]
	;; [unrolled: 2-line block ×5, first 2 shown]
	v_fma_f64 v[138:139], v[50:51], s[22:23], v[144:145]
	v_fma_f64 v[144:145], v[50:51], s[22:23], -v[144:145]
	v_fma_f64 v[194:195], v[50:51], s[16:17], v[146:147]
	v_fma_f64 v[146:147], v[50:51], s[16:17], -v[146:147]
	;; [unrolled: 2-line block ×5, first 2 shown]
	v_add_f64 v[52:53], v[52:53], v[71:72]
	v_add_f64 v[54:55], v[54:55], v[73:74]
	;; [unrolled: 1-line block ×4, first 2 shown]
	v_add_f64 v[116:117], v[71:72], -v[83:84]
	v_add_f64 v[118:119], v[73:74], -v[85:86]
	v_mul_f64 v[156:157], v[126:127], s[20:21]
	v_mul_f64 v[158:159], v[124:125], s[20:21]
	;; [unrolled: 1-line block ×4, first 2 shown]
	v_fma_f64 v[50:51], v[128:129], s[16:17], -v[152:153]
	v_fma_f64 v[202:203], v[130:131], s[16:17], v[154:155]
	v_fma_f64 v[152:153], v[128:129], s[16:17], v[152:153]
	v_fma_f64 v[154:155], v[130:131], s[16:17], -v[154:155]
	v_fma_f64 v[204:205], v[128:129], s[8:9], -v[164:165]
	v_fma_f64 v[206:207], v[130:131], s[8:9], v[166:167]
	v_add_f64 v[56:57], v[44:45], v[56:57]
	v_add_f64 v[71:72], v[46:47], v[138:139]
	;; [unrolled: 1-line block ×22, first 2 shown]
	v_add_f64 v[107:108], v[75:76], -v[79:80]
	v_add_f64 v[109:110], v[77:78], -v[81:82]
	v_mul_f64 v[160:161], v[118:119], s[18:19]
	v_mul_f64 v[162:163], v[116:117], s[18:19]
	;; [unrolled: 1-line block ×4, first 2 shown]
	v_fma_f64 v[164:165], v[128:129], s[8:9], v[164:165]
	v_fma_f64 v[208:209], v[120:121], s[14:15], -v[156:157]
	v_fma_f64 v[210:211], v[122:123], s[14:15], v[158:159]
	v_fma_f64 v[166:167], v[130:131], s[8:9], -v[166:167]
	;; [unrolled: 2-line block ×3, first 2 shown]
	v_fma_f64 v[220:221], v[120:121], s[4:5], -v[172:173]
	v_fma_f64 v[222:223], v[122:123], s[4:5], v[174:175]
	v_add_f64 v[48:49], v[50:51], v[56:57]
	v_add_f64 v[50:51], v[202:203], v[71:72]
	;; [unrolled: 1-line block ×10, first 2 shown]
	v_mul_f64 v[168:169], v[109:110], s[6:7]
	v_mul_f64 v[170:171], v[107:108], s[6:7]
	;; [unrolled: 1-line block ×5, first 2 shown]
	v_fma_f64 v[212:213], v[112:113], s[8:9], -v[160:161]
	v_fma_f64 v[214:215], v[114:115], s[8:9], v[162:163]
	v_fma_f64 v[160:161], v[112:113], s[8:9], v[160:161]
	v_fma_f64 v[162:163], v[114:115], s[8:9], -v[162:163]
	v_fma_f64 v[224:225], v[112:113], s[14:15], -v[176:177]
	v_fma_f64 v[226:227], v[114:115], s[14:15], v[178:179]
	v_fma_f64 v[172:173], v[120:121], s[4:5], v[172:173]
	v_fma_f64 v[174:175], v[122:123], s[4:5], -v[174:175]
	v_add_f64 v[71:72], v[164:165], v[101:102]
	v_add_f64 v[73:74], v[166:167], v[144:145]
	;; [unrolled: 1-line block ×10, first 2 shown]
	v_mul_f64 v[186:187], v[134:135], s[28:29]
	v_fma_f64 v[216:217], v[103:104], s[4:5], -v[168:169]
	v_fma_f64 v[218:219], v[105:106], s[4:5], v[170:171]
	v_fma_f64 v[168:169], v[103:104], s[4:5], v[168:169]
	v_fma_f64 v[170:171], v[105:106], s[4:5], -v[170:171]
	v_fma_f64 v[228:229], v[103:104], s[22:23], -v[180:181]
	v_fma_f64 v[230:231], v[105:106], s[22:23], v[182:183]
	v_fma_f64 v[176:177], v[112:113], s[14:15], v[176:177]
	v_fma_f64 v[178:179], v[114:115], s[14:15], -v[178:179]
	v_fma_f64 v[232:233], v[128:129], s[4:5], -v[184:185]
	v_add_f64 v[71:72], v[172:173], v[71:72]
	v_add_f64 v[73:74], v[174:175], v[73:74]
	;; [unrolled: 1-line block ×10, first 2 shown]
	v_mul_f64 v[79:80], v[126:127], s[36:37]
	v_add_f64 v[44:45], v[216:217], v[48:49]
	v_add_f64 v[46:47], v[218:219], v[50:51]
	;; [unrolled: 1-line block ×8, first 2 shown]
	v_fma_f64 v[56:57], v[130:131], s[4:5], v[186:187]
	v_add_f64 v[58:59], v[176:177], v[71:72]
	v_fma_f64 v[71:72], v[103:104], s[22:23], v[180:181]
	v_fma_f64 v[81:82], v[105:106], s[22:23], -v[182:183]
	v_add_f64 v[73:74], v[178:179], v[73:74]
	v_mul_f64 v[83:84], v[124:125], s[36:37]
	v_add_f64 v[85:86], v[232:233], v[146:147]
	v_mul_f64 v[87:88], v[118:119], s[26:27]
	v_fma_f64 v[91:92], v[120:121], s[16:17], -v[79:80]
	v_fma_f64 v[93:94], v[128:129], s[4:5], v[184:185]
	v_add_f64 v[89:90], v[56:57], v[188:189]
	v_add_f64 v[56:57], v[71:72], v[58:59]
	;; [unrolled: 1-line block ×5, first 2 shown]
	v_fma_f64 v[75:76], v[122:123], s[16:17], v[83:84]
	v_fma_f64 v[77:78], v[130:131], s[4:5], -v[186:187]
	v_add_f64 v[81:82], v[91:92], v[85:86]
	v_fma_f64 v[85:86], v[112:113], s[22:23], -v[87:88]
	v_mul_f64 v[91:92], v[116:117], s[26:27]
	v_mul_f64 v[95:96], v[109:110], s[18:19]
	v_add_f64 v[93:94], v[93:94], v[140:141]
	v_fma_f64 v[79:80], v[120:121], s[16:17], v[79:80]
	v_add_f64 v[75:76], v[75:76], v[89:90]
	v_add_f64 v[77:78], v[77:78], v[148:149]
	v_fma_f64 v[83:84], v[122:123], s[16:17], -v[83:84]
	v_add_f64 v[81:82], v[85:86], v[81:82]
	v_fma_f64 v[85:86], v[114:115], s[22:23], v[91:92]
	v_fma_f64 v[89:90], v[103:104], s[8:9], -v[95:96]
	v_mul_f64 v[97:98], v[107:108], s[18:19]
	v_add_f64 v[79:80], v[79:80], v[93:94]
	v_fma_f64 v[87:88], v[112:113], s[22:23], v[87:88]
	v_mul_f64 v[93:94], v[136:137], s[30:31]
	v_add_f64 v[77:78], v[83:84], v[77:78]
	v_fma_f64 v[83:84], v[114:115], s[22:23], -v[91:92]
	v_add_f64 v[85:86], v[85:86], v[75:76]
	v_add_f64 v[75:76], v[89:90], v[81:82]
	v_mul_f64 v[89:90], v[134:135], s[30:31]
	v_fma_f64 v[81:82], v[105:106], s[8:9], v[97:98]
	v_add_f64 v[79:80], v[87:88], v[79:80]
	v_fma_f64 v[87:88], v[128:129], s[14:15], -v[93:94]
	v_mul_f64 v[91:92], v[126:127], s[26:27]
	v_add_f64 v[83:84], v[83:84], v[77:78]
	v_fma_f64 v[95:96], v[103:104], s[8:9], v[95:96]
	v_fma_f64 v[97:98], v[105:106], s[8:9], -v[97:98]
	v_fma_f64 v[99:100], v[130:131], s[14:15], v[89:90]
	v_mul_f64 v[101:102], v[124:125], s[26:27]
	v_fma_f64 v[93:94], v[128:129], s[14:15], v[93:94]
	v_add_f64 v[77:78], v[81:82], v[85:86]
	v_add_f64 v[85:86], v[87:88], v[190:191]
	v_fma_f64 v[87:88], v[120:121], s[22:23], -v[91:92]
	v_mul_f64 v[138:139], v[118:119], s[6:7]
	v_add_f64 v[79:80], v[95:96], v[79:80]
	v_add_f64 v[95:96], v[99:100], v[194:195]
	v_fma_f64 v[99:100], v[122:123], s[22:23], v[101:102]
	v_add_f64 v[81:82], v[97:98], v[83:84]
	v_mul_f64 v[83:84], v[116:117], s[6:7]
	v_fma_f64 v[89:90], v[130:131], s[14:15], -v[89:90]
	v_add_f64 v[93:94], v[93:94], v[142:143]
	v_fma_f64 v[91:92], v[120:121], s[22:23], v[91:92]
	v_add_f64 v[85:86], v[87:88], v[85:86]
	v_fma_f64 v[87:88], v[112:113], s[4:5], -v[138:139]
	v_mul_f64 v[97:98], v[136:137], s[34:35]
	v_add_f64 v[95:96], v[99:100], v[95:96]
	v_fma_f64 v[99:100], v[114:115], s[4:5], v[83:84]
	v_add_f64 v[89:90], v[89:90], v[150:151]
	v_fma_f64 v[101:102], v[122:123], s[22:23], -v[101:102]
	v_add_f64 v[91:92], v[91:92], v[93:94]
	v_mul_f64 v[93:94], v[134:135], s[34:35]
	v_add_f64 v[85:86], v[87:88], v[85:86]
	v_fma_f64 v[87:88], v[128:129], s[22:23], -v[97:98]
	v_mul_f64 v[126:127], v[126:127], s[18:19]
	v_fma_f64 v[97:98], v[128:129], s[22:23], v[97:98]
	v_add_f64 v[95:96], v[99:100], v[95:96]
	v_add_f64 v[89:90], v[101:102], v[89:90]
	v_fma_f64 v[83:84], v[114:115], s[4:5], -v[83:84]
	v_fma_f64 v[99:100], v[130:131], s[22:23], v[93:94]
	v_mul_f64 v[101:102], v[124:125], s[18:19]
	v_fma_f64 v[93:94], v[130:131], s[22:23], -v[93:94]
	v_fma_f64 v[124:125], v[120:121], s[8:9], -v[126:127]
	v_add_f64 v[97:98], v[97:98], v[132:133]
	v_fma_f64 v[120:121], v[120:121], s[8:9], v[126:127]
	v_add_f64 v[87:88], v[87:88], v[192:193]
	v_add_f64 v[89:90], v[83:84], v[89:90]
	;; [unrolled: 1-line block ×3, first 2 shown]
	v_fma_f64 v[128:129], v[122:123], s[8:9], v[101:102]
	v_add_f64 v[93:94], v[93:94], v[198:199]
	v_fma_f64 v[101:102], v[122:123], s[8:9], -v[101:102]
	v_mul_f64 v[118:119], v[118:119], s[36:37]
	v_mul_f64 v[116:117], v[116:117], s[36:37]
	;; [unrolled: 1-line block ×3, first 2 shown]
	v_add_f64 v[97:98], v[120:121], v[97:98]
	v_mul_f64 v[120:121], v[107:108], s[36:37]
	v_fma_f64 v[134:135], v[112:113], s[4:5], v[138:139]
	v_add_f64 v[87:88], v[124:125], v[87:88]
	v_add_f64 v[83:84], v[128:129], v[83:84]
	v_add_f64 v[93:94], v[101:102], v[93:94]
	v_fma_f64 v[101:102], v[112:113], s[16:17], -v[118:119]
	v_fma_f64 v[112:113], v[112:113], s[16:17], v[118:119]
	v_fma_f64 v[118:119], v[114:115], s[16:17], v[116:117]
	v_mul_f64 v[109:110], v[109:110], s[20:21]
	v_mul_f64 v[107:108], v[107:108], s[20:21]
	v_fma_f64 v[114:115], v[114:115], s[16:17], -v[116:117]
	v_fma_f64 v[122:123], v[103:104], s[16:17], -v[99:100]
	v_fma_f64 v[116:117], v[105:106], s[16:17], v[120:121]
	v_add_f64 v[91:92], v[134:135], v[91:92]
	v_fma_f64 v[99:100], v[103:104], s[16:17], v[99:100]
	v_add_f64 v[101:102], v[101:102], v[87:88]
	v_add_f64 v[118:119], v[118:119], v[83:84]
	v_fma_f64 v[124:125], v[103:104], s[14:15], -v[109:110]
	v_fma_f64 v[126:127], v[105:106], s[14:15], v[107:108]
	v_fma_f64 v[120:121], v[105:106], s[16:17], -v[120:121]
	v_add_f64 v[97:98], v[112:113], v[97:98]
	v_add_f64 v[112:113], v[114:115], v[93:94]
	v_fma_f64 v[103:104], v[103:104], s[14:15], v[109:110]
	v_fma_f64 v[105:106], v[105:106], s[14:15], -v[107:108]
	v_add_f64 v[83:84], v[122:123], v[85:86]
	v_add_f64 v[85:86], v[116:117], v[95:96]
	;; [unrolled: 1-line block ×8, first 2 shown]
	v_mad_u32_u24 v99, v69, s38, 0
	s_waitcnt lgkmcnt(0)
	s_barrier
	ds_write_b128 v99, v[71:74]
	ds_write_b128 v99, v[44:47] offset:16
	ds_write_b128 v99, v[52:55] offset:32
	;; [unrolled: 1-line block ×10, first 2 shown]
	s_and_saveexec_b64 s[38:39], vcc
	s_cbranch_execz .LBB0_21
; %bb.20:
	v_add_f64 v[109:110], v[10:11], v[26:27]
	v_add_f64 v[101:102], v[10:11], -v[26:27]
	v_add_f64 v[107:108], v[14:15], v[34:35]
	v_add_f64 v[87:88], v[8:9], -v[24:25]
	v_add_f64 v[89:90], v[14:15], -v[34:35]
	v_add_f64 v[83:84], v[8:9], v[24:25]
	v_add_f64 v[105:106], v[6:7], v[30:31]
	v_add_f64 v[85:86], v[12:13], -v[32:33]
	v_mul_f64 v[46:47], v[109:110], s[4:5]
	v_mul_f64 v[54:55], v[101:102], s[6:7]
	;; [unrolled: 1-line block ×3, first 2 shown]
	v_add_f64 v[93:94], v[6:7], -v[30:31]
	v_add_f64 v[81:82], v[12:13], v[32:33]
	v_mul_f64 v[58:59], v[89:90], s[34:35]
	v_mul_f64 v[50:51], v[105:106], s[8:9]
	v_add_f64 v[75:76], v[4:5], -v[28:29]
	v_fma_f64 v[56:57], v[87:88], s[28:29], v[46:47]
	v_fma_f64 v[77:78], v[83:84], s[4:5], v[54:55]
	;; [unrolled: 1-line block ×3, first 2 shown]
	v_add_f64 v[97:98], v[42:43], -v[38:39]
	v_add_f64 v[79:80], v[4:5], v[28:29]
	v_mul_f64 v[113:114], v[93:94], s[18:19]
	v_fma_f64 v[115:116], v[81:82], s[22:23], v[58:59]
	s_mov_b32 s41, 0x3fe82f19
	v_add_f64 v[56:57], v[2:3], v[56:57]
	v_add_f64 v[117:118], v[0:1], v[77:78]
	s_mov_b32 s40, s18
	v_add_f64 v[103:104], v[42:43], v[38:39]
	v_fma_f64 v[119:120], v[75:76], s[40:41], v[50:51]
	v_add_f64 v[99:100], v[18:19], -v[22:23]
	v_add_f64 v[77:78], v[40:41], v[36:37]
	v_mul_f64 v[121:122], v[97:98], s[36:37]
	v_add_f64 v[56:57], v[91:92], v[56:57]
	v_fma_f64 v[46:47], v[87:88], s[6:7], v[46:47]
	v_fma_f64 v[123:124], v[79:80], s[8:9], v[113:114]
	v_add_f64 v[115:116], v[115:116], v[117:118]
	v_add_f64 v[95:96], v[18:19], v[22:23]
	v_mul_f64 v[44:45], v[103:104], s[16:17]
	v_add_f64 v[73:74], v[40:41], -v[36:37]
	v_add_f64 v[91:92], v[16:17], v[20:21]
	v_add_f64 v[56:57], v[119:120], v[56:57]
	v_mul_f64 v[119:120], v[99:100], s[20:21]
	v_fma_f64 v[52:53], v[85:86], s[34:35], v[52:53]
	v_add_f64 v[46:47], v[2:3], v[46:47]
	v_fma_f64 v[125:126], v[77:78], s[16:17], v[121:122]
	v_add_f64 v[115:116], v[123:124], v[115:116]
	v_add_f64 v[71:72], v[16:17], -v[20:21]
	v_mul_f64 v[48:49], v[95:96], s[14:15]
	v_fma_f64 v[117:118], v[73:74], s[24:25], v[44:45]
	v_fma_f64 v[50:51], v[75:76], s[18:19], v[50:51]
	v_fma_f64 v[54:55], v[83:84], s[4:5], -v[54:55]
	v_add_f64 v[46:47], v[52:53], v[46:47]
	v_fma_f64 v[52:53], v[91:92], s[14:15], v[119:120]
	v_add_f64 v[115:116], v[125:126], v[115:116]
	v_fma_f64 v[58:59], v[81:82], s[22:23], -v[58:59]
	v_fma_f64 v[123:124], v[71:72], s[30:31], v[48:49]
	v_add_f64 v[56:57], v[117:118], v[56:57]
	v_fma_f64 v[117:118], v[73:74], s[36:37], v[44:45]
	v_add_f64 v[54:55], v[0:1], v[54:55]
	v_add_f64 v[50:51], v[50:51], v[46:47]
	v_mul_f64 v[127:128], v[93:94], s[26:27]
	v_add_f64 v[44:45], v[52:53], v[115:116]
	v_mul_f64 v[52:53], v[109:110], s[8:9]
	v_mul_f64 v[115:116], v[107:108], s[14:15]
	v_add_f64 v[46:47], v[123:124], v[56:57]
	v_fma_f64 v[56:57], v[79:80], s[8:9], -v[113:114]
	v_mul_f64 v[113:114], v[101:102], s[18:19]
	v_add_f64 v[54:55], v[58:59], v[54:55]
	v_add_f64 v[50:51], v[117:118], v[50:51]
	v_fma_f64 v[58:59], v[91:92], s[14:15], -v[119:120]
	v_fma_f64 v[117:118], v[87:88], s[40:41], v[52:53]
	v_fma_f64 v[119:120], v[77:78], s[16:17], -v[121:122]
	v_mul_f64 v[121:122], v[89:90], s[30:31]
	v_fma_f64 v[52:53], v[87:88], s[18:19], v[52:53]
	v_fma_f64 v[123:124], v[83:84], s[8:9], v[113:114]
	v_add_f64 v[54:55], v[56:57], v[54:55]
	v_mul_f64 v[56:57], v[105:106], s[22:23]
	v_fma_f64 v[125:126], v[85:86], s[20:21], v[115:116]
	v_add_f64 v[117:118], v[2:3], v[117:118]
	v_fma_f64 v[115:116], v[85:86], s[30:31], v[115:116]
	v_fma_f64 v[129:130], v[81:82], s[14:15], v[121:122]
	v_add_f64 v[52:53], v[2:3], v[52:53]
	v_add_f64 v[123:124], v[0:1], v[123:124]
	v_mul_f64 v[131:132], v[103:104], s[4:5]
	v_fma_f64 v[133:134], v[75:76], s[34:35], v[56:57]
	v_fma_f64 v[135:136], v[79:80], s[22:23], v[127:128]
	v_add_f64 v[117:118], v[125:126], v[117:118]
	v_mul_f64 v[125:126], v[97:98], s[6:7]
	v_fma_f64 v[56:57], v[75:76], s[26:27], v[56:57]
	v_add_f64 v[52:53], v[115:116], v[52:53]
	v_add_f64 v[123:124], v[129:130], v[123:124]
	v_mul_f64 v[115:116], v[95:96], s[16:17]
	v_fma_f64 v[129:130], v[73:74], s[28:29], v[131:132]
	v_fma_f64 v[48:49], v[71:72], s[20:21], v[48:49]
	v_add_f64 v[117:118], v[133:134], v[117:118]
	v_mul_f64 v[133:134], v[99:100], s[36:37]
	v_fma_f64 v[137:138], v[77:78], s[4:5], v[125:126]
	v_fma_f64 v[131:132], v[73:74], s[6:7], v[131:132]
	v_add_f64 v[123:124], v[135:136], v[123:124]
	v_add_f64 v[52:53], v[56:57], v[52:53]
	;; [unrolled: 1-line block ×3, first 2 shown]
	v_fma_f64 v[56:57], v[71:72], s[24:25], v[115:116]
	v_add_f64 v[117:118], v[129:130], v[117:118]
	v_fma_f64 v[113:114], v[83:84], s[8:9], -v[113:114]
	v_fma_f64 v[119:120], v[91:92], s[16:17], v[133:134]
	v_fma_f64 v[115:116], v[71:72], s[36:37], v[115:116]
	v_add_f64 v[123:124], v[137:138], v[123:124]
	v_add_f64 v[129:130], v[131:132], v[52:53]
	;; [unrolled: 1-line block ×4, first 2 shown]
	v_fma_f64 v[121:122], v[81:82], s[14:15], -v[121:122]
	v_mul_f64 v[131:132], v[109:110], s[14:15]
	v_add_f64 v[113:114], v[0:1], v[113:114]
	v_add_f64 v[54:55], v[56:57], v[117:118]
	v_mul_f64 v[56:57], v[101:102], s[20:21]
	v_add_f64 v[52:53], v[119:120], v[123:124]
	v_add_f64 v[58:59], v[115:116], v[129:130]
	v_fma_f64 v[115:116], v[79:80], s[22:23], -v[127:128]
	v_mul_f64 v[117:118], v[107:108], s[4:5]
	v_fma_f64 v[119:120], v[87:88], s[30:31], v[131:132]
	v_add_f64 v[113:114], v[121:122], v[113:114]
	v_fma_f64 v[123:124], v[77:78], s[4:5], -v[125:126]
	v_mul_f64 v[125:126], v[89:90], s[28:29]
	v_fma_f64 v[127:128], v[83:84], s[14:15], v[56:57]
	v_fma_f64 v[121:122], v[91:92], s[16:17], -v[133:134]
	v_mul_f64 v[129:130], v[105:106], s[16:17]
	v_fma_f64 v[133:134], v[85:86], s[6:7], v[117:118]
	v_add_f64 v[119:120], v[2:3], v[119:120]
	v_add_f64 v[113:114], v[115:116], v[113:114]
	v_mul_f64 v[135:136], v[93:94], s[36:37]
	v_fma_f64 v[115:116], v[87:88], s[20:21], v[131:132]
	v_fma_f64 v[131:132], v[81:82], s[4:5], v[125:126]
	v_add_f64 v[127:128], v[0:1], v[127:128]
	v_fma_f64 v[139:140], v[75:76], s[24:25], v[129:130]
	v_fma_f64 v[117:118], v[85:86], s[28:29], v[117:118]
	v_add_f64 v[119:120], v[133:134], v[119:120]
	v_mul_f64 v[133:134], v[97:98], s[26:27]
	v_fma_f64 v[141:142], v[79:80], s[16:17], v[135:136]
	v_add_f64 v[115:116], v[2:3], v[115:116]
	v_mul_f64 v[137:138], v[103:104], s[22:23]
	v_add_f64 v[127:128], v[131:132], v[127:128]
	v_mul_f64 v[131:132], v[95:96], s[8:9]
	v_fma_f64 v[129:130], v[75:76], s[36:37], v[129:130]
	v_add_f64 v[119:120], v[139:140], v[119:120]
	v_mul_f64 v[139:140], v[99:100], s[18:19]
	v_add_f64 v[113:114], v[123:124], v[113:114]
	v_add_f64 v[115:116], v[117:118], v[115:116]
	v_fma_f64 v[117:118], v[77:78], s[22:23], v[133:134]
	v_add_f64 v[127:128], v[141:142], v[127:128]
	v_fma_f64 v[141:142], v[83:84], s[14:15], -v[56:57]
	v_fma_f64 v[143:144], v[73:74], s[34:35], v[137:138]
	v_fma_f64 v[123:124], v[71:72], s[40:41], v[131:132]
	;; [unrolled: 1-line block ×3, first 2 shown]
	v_add_f64 v[56:57], v[121:122], v[113:114]
	v_add_f64 v[115:116], v[129:130], v[115:116]
	v_fma_f64 v[129:130], v[91:92], s[8:9], v[139:140]
	v_add_f64 v[117:118], v[117:118], v[127:128]
	v_fma_f64 v[121:122], v[71:72], s[18:19], v[131:132]
	v_fma_f64 v[125:126], v[81:82], s[4:5], -v[125:126]
	v_add_f64 v[131:132], v[0:1], v[141:142]
	v_add_f64 v[119:120], v[143:144], v[119:120]
	v_add_f64 v[10:11], v[2:3], v[10:11]
	v_add_f64 v[137:138], v[137:138], v[115:116]
	v_add_f64 v[8:9], v[0:1], v[8:9]
	v_add_f64 v[113:114], v[129:130], v[117:118]
	v_fma_f64 v[117:118], v[79:80], s[16:17], -v[135:136]
	v_mul_f64 v[127:128], v[109:110], s[16:17]
	v_add_f64 v[125:126], v[125:126], v[131:132]
	v_add_f64 v[115:116], v[123:124], v[119:120]
	v_mul_f64 v[123:124], v[101:102], s[24:25]
	v_add_f64 v[119:120], v[121:122], v[137:138]
	v_fma_f64 v[121:122], v[77:78], s[22:23], -v[133:134]
	v_add_f64 v[10:11], v[10:11], v[14:15]
	v_add_f64 v[12:13], v[8:9], v[12:13]
	v_mul_f64 v[129:130], v[107:108], s[8:9]
	v_add_f64 v[117:118], v[117:118], v[125:126]
	v_mul_f64 v[131:132], v[89:90], s[18:19]
	v_fma_f64 v[133:134], v[83:84], s[16:17], v[123:124]
	v_mul_f64 v[137:138], v[105:106], s[4:5]
	v_fma_f64 v[135:136], v[87:88], s[36:37], v[127:128]
	v_add_f64 v[6:7], v[10:11], v[6:7]
	v_add_f64 v[4:5], v[12:13], v[4:5]
	v_fma_f64 v[141:142], v[85:86], s[40:41], v[129:130]
	v_add_f64 v[117:118], v[121:122], v[117:118]
	v_fma_f64 v[121:122], v[87:88], s[24:25], v[127:128]
	v_fma_f64 v[143:144], v[81:82], s[8:9], v[131:132]
	v_add_f64 v[133:134], v[0:1], v[133:134]
	v_fma_f64 v[129:130], v[85:86], s[18:19], v[129:130]
	v_add_f64 v[6:7], v[6:7], v[42:43]
	v_add_f64 v[4:5], v[4:5], v[40:41]
	v_fma_f64 v[125:126], v[91:92], s[8:9], -v[139:140]
	v_fma_f64 v[147:148], v[75:76], s[6:7], v[137:138]
	v_add_f64 v[121:122], v[2:3], v[121:122]
	v_fma_f64 v[137:138], v[75:76], s[28:29], v[137:138]
	v_add_f64 v[133:134], v[143:144], v[133:134]
	v_mul_f64 v[143:144], v[95:96], s[22:23]
	v_fma_f64 v[123:124], v[83:84], s[16:17], -v[123:124]
	v_mul_f64 v[109:110], v[109:110], s[22:23]
	v_mul_f64 v[40:41], v[101:102], s[26:27]
	v_add_f64 v[135:136], v[2:3], v[135:136]
	v_add_f64 v[121:122], v[129:130], v[121:122]
	v_mul_f64 v[139:140], v[93:94], s[28:29]
	v_add_f64 v[6:7], v[6:7], v[18:19]
	v_add_f64 v[4:5], v[4:5], v[16:17]
	;; [unrolled: 1-line block ×3, first 2 shown]
	v_fma_f64 v[125:126], v[71:72], s[26:27], v[143:144]
	v_fma_f64 v[131:132], v[81:82], s[8:9], -v[131:132]
	v_add_f64 v[123:124], v[0:1], v[123:124]
	v_add_f64 v[121:122], v[137:138], v[121:122]
	v_fma_f64 v[137:138], v[71:72], s[34:35], v[143:144]
	v_mul_f64 v[107:108], v[107:108], s[16:17]
	v_fma_f64 v[143:144], v[87:88], s[34:35], v[109:110]
	v_fma_f64 v[87:88], v[87:88], s[26:27], v[109:110]
	v_mul_f64 v[89:90], v[89:90], s[24:25]
	v_fma_f64 v[16:17], v[83:84], s[22:23], -v[40:41]
	v_mul_f64 v[145:146], v[103:104], s[14:15]
	v_add_f64 v[135:136], v[141:142], v[135:136]
	v_fma_f64 v[141:142], v[79:80], s[4:5], v[139:140]
	v_fma_f64 v[40:41], v[83:84], s[22:23], v[40:41]
	v_add_f64 v[6:7], v[6:7], v[22:23]
	v_add_f64 v[4:5], v[4:5], v[20:21]
	v_add_f64 v[123:124], v[131:132], v[123:124]
	v_mul_f64 v[105:106], v[105:106], s[14:15]
	v_fma_f64 v[14:15], v[85:86], s[36:37], v[107:108]
	v_add_f64 v[131:132], v[2:3], v[143:144]
	v_mul_f64 v[18:19], v[93:94], s[20:21]
	v_fma_f64 v[83:84], v[85:86], s[24:25], v[107:108]
	v_add_f64 v[2:3], v[2:3], v[87:88]
	v_fma_f64 v[85:86], v[81:82], s[16:17], -v[89:90]
	v_add_f64 v[16:17], v[0:1], v[16:17]
	v_mul_f64 v[127:128], v[97:98], s[30:31]
	v_add_f64 v[133:134], v[141:142], v[133:134]
	v_fma_f64 v[141:142], v[73:74], s[30:31], v[145:146]
	v_fma_f64 v[139:140], v[79:80], s[4:5], -v[139:140]
	v_fma_f64 v[20:21], v[81:82], s[16:17], v[89:90]
	v_add_f64 v[0:1], v[0:1], v[40:41]
	v_add_f64 v[6:7], v[6:7], v[38:39]
	;; [unrolled: 1-line block ×3, first 2 shown]
	v_mul_f64 v[103:104], v[103:104], s[8:9]
	v_fma_f64 v[10:11], v[75:76], s[30:31], v[105:106]
	v_add_f64 v[12:13], v[14:15], v[131:132]
	v_mul_f64 v[42:43], v[97:98], s[18:19]
	v_fma_f64 v[22:23], v[75:76], s[20:21], v[105:106]
	v_add_f64 v[2:3], v[83:84], v[2:3]
	v_fma_f64 v[40:41], v[79:80], s[14:15], -v[18:19]
	v_add_f64 v[16:17], v[85:86], v[16:17]
	v_fma_f64 v[151:152], v[77:78], s[14:15], v[127:128]
	v_add_f64 v[121:122], v[141:142], v[121:122]
	v_fma_f64 v[127:128], v[77:78], s[14:15], -v[127:128]
	v_add_f64 v[123:124], v[139:140], v[123:124]
	v_fma_f64 v[18:19], v[79:80], s[14:15], v[18:19]
	v_add_f64 v[0:1], v[20:21], v[0:1]
	v_add_f64 v[6:7], v[6:7], v[30:31]
	;; [unrolled: 1-line block ×3, first 2 shown]
	v_mul_f64 v[95:96], v[95:96], s[4:5]
	v_add_f64 v[10:11], v[10:11], v[12:13]
	v_mul_f64 v[12:13], v[99:100], s[6:7]
	v_fma_f64 v[20:21], v[73:74], s[18:19], v[103:104]
	v_add_f64 v[2:3], v[22:23], v[2:3]
	v_fma_f64 v[22:23], v[77:78], s[8:9], -v[42:43]
	v_add_f64 v[16:17], v[40:41], v[16:17]
	v_add_f64 v[135:136], v[147:148], v[135:136]
	v_mul_f64 v[147:148], v[99:100], s[34:35]
	v_fma_f64 v[149:150], v[73:74], s[20:21], v[145:146]
	v_add_f64 v[8:9], v[137:138], v[121:122]
	v_add_f64 v[121:122], v[127:128], v[123:124]
	v_fma_f64 v[123:124], v[73:74], s[40:41], v[103:104]
	v_fma_f64 v[28:29], v[77:78], s[8:9], v[42:43]
	v_add_f64 v[0:1], v[18:19], v[0:1]
	v_add_f64 v[6:7], v[6:7], v[34:35]
	;; [unrolled: 1-line block ×3, first 2 shown]
	v_fma_f64 v[18:19], v[71:72], s[6:7], v[95:96]
	v_add_f64 v[2:3], v[20:21], v[2:3]
	v_fma_f64 v[20:21], v[91:92], s[4:5], -v[12:13]
	v_add_f64 v[16:17], v[22:23], v[16:17]
	v_fma_f64 v[14:15], v[91:92], s[22:23], -v[147:148]
	v_add_f64 v[129:130], v[149:150], v[135:136]
	v_fma_f64 v[135:136], v[91:92], s[22:23], v[147:148]
	v_add_f64 v[133:134], v[151:152], v[133:134]
	v_fma_f64 v[22:23], v[71:72], s[28:29], v[95:96]
	;; [unrolled: 2-line block ×3, first 2 shown]
	v_add_f64 v[28:29], v[28:29], v[0:1]
	v_add_f64 v[12:13], v[6:7], v[26:27]
	;; [unrolled: 1-line block ×6, first 2 shown]
	v_mul_u32_u24_e32 v112, 0xb0, v69
	v_add_u32_e32 v4, 0, v112
	v_add_f64 v[16:17], v[125:126], v[129:130]
	v_add_f64 v[14:15], v[135:136], v[133:134]
	v_add_f64 v[20:21], v[22:23], v[30:31]
	v_add_f64 v[18:19], v[32:33], v[28:29]
	ds_write_b128 v4, v[10:13] offset:17424
	ds_write_b128 v4, v[0:3] offset:17440
	;; [unrolled: 1-line block ×11, first 2 shown]
.LBB0_21:
	s_or_b64 exec, exec, s[38:39]
	s_movk_i32 s4, 0x75
	v_mul_lo_u16_sdwa v0, v69, s4 dst_sel:DWORD dst_unused:UNUSED_PAD src0_sel:BYTE_0 src1_sel:DWORD
	v_sub_u16_sdwa v1, v69, v0 dst_sel:DWORD dst_unused:UNUSED_PAD src0_sel:DWORD src1_sel:BYTE_1
	v_lshrrev_b16_e32 v1, 1, v1
	v_and_b32_e32 v1, 0x7f, v1
	v_add_u16_sdwa v0, v1, v0 dst_sel:DWORD dst_unused:UNUSED_PAD src0_sel:DWORD src1_sel:BYTE_1
	v_lshrrev_b16_e32 v1, 3, v0
	v_mul_lo_u16_e32 v0, 11, v1
	v_sub_u16_e32 v59, v69, v0
	v_mov_b32_e32 v0, 5
	v_add_u32_e32 v3, 0x63, v69
	v_lshlrev_b32_sdwa v4, v0, v59 dst_sel:DWORD dst_unused:UNUSED_PAD src0_sel:DWORD src1_sel:BYTE_0
	s_waitcnt lgkmcnt(0)
	s_barrier
	global_load_dwordx4 v[7:10], v4, s[12:13] offset:16
	global_load_dwordx4 v[11:14], v4, s[12:13]
	v_mul_lo_u16_sdwa v4, v3, s4 dst_sel:DWORD dst_unused:UNUSED_PAD src0_sel:BYTE_0 src1_sel:DWORD
	v_sub_u16_sdwa v5, v3, v4 dst_sel:DWORD dst_unused:UNUSED_PAD src0_sel:DWORD src1_sel:BYTE_1
	v_add_u32_e32 v2, 0xc6, v69
	v_lshrrev_b16_e32 v5, 1, v5
	s_mov_b32 s4, 0xba2f
	v_mul_u32_u24_sdwa v6, v2, s4 dst_sel:DWORD dst_unused:UNUSED_PAD src0_sel:WORD_0 src1_sel:DWORD
	v_and_b32_e32 v5, 0x7f, v5
	v_lshrrev_b32_e32 v152, 19, v6
	v_add_u16_sdwa v4, v5, v4 dst_sel:DWORD dst_unused:UNUSED_PAD src0_sel:DWORD src1_sel:BYTE_1
	v_mul_lo_u16_e32 v6, 11, v152
	v_lshrrev_b16_e32 v154, 3, v4
	v_sub_u16_e32 v153, v2, v6
	v_mul_lo_u16_e32 v4, 11, v154
	v_lshlrev_b32_e32 v6, 5, v153
	v_sub_u16_e32 v155, v3, v4
	v_add_u32_e32 v5, 0x129, v69
	global_load_dwordx4 v[15:18], v6, s[12:13] offset:16
	global_load_dwordx4 v[19:22], v6, s[12:13]
	v_lshlrev_b32_sdwa v4, v0, v155 dst_sel:DWORD dst_unused:UNUSED_PAD src0_sel:DWORD src1_sel:BYTE_0
	v_mul_u32_u24_sdwa v6, v5, s4 dst_sel:DWORD dst_unused:UNUSED_PAD src0_sel:WORD_0 src1_sel:DWORD
	global_load_dwordx4 v[23:26], v4, s[12:13]
	global_load_dwordx4 v[27:30], v4, s[12:13] offset:16
	v_lshrrev_b32_e32 v156, 19, v6
	v_mul_lo_u16_e32 v6, 11, v156
	v_sub_u16_e32 v157, v5, v6
	v_add_u32_e32 v4, 0x18c, v69
	v_lshlrev_b32_e32 v6, 5, v157
	global_load_dwordx4 v[31:34], v6, s[12:13] offset:16
	global_load_dwordx4 v[35:38], v6, s[12:13]
	v_mul_u32_u24_sdwa v6, v4, s4 dst_sel:DWORD dst_unused:UNUSED_PAD src0_sel:WORD_0 src1_sel:DWORD
	v_lshrrev_b32_e32 v158, 19, v6
	v_mul_lo_u16_e32 v6, 11, v158
	v_sub_u16_e32 v159, v4, v6
	v_lshlrev_b32_e32 v6, 5, v159
	global_load_dwordx4 v[39:42], v6, s[12:13]
	global_load_dwordx4 v[43:46], v6, s[12:13] offset:16
	v_add_u32_e32 v6, 0x1ef, v69
	v_mul_u32_u24_sdwa v47, v6, s4 dst_sel:DWORD dst_unused:UNUSED_PAD src0_sel:WORD_0 src1_sel:DWORD
	v_lshrrev_b32_e32 v160, 19, v47
	v_mul_lo_u16_e32 v47, 11, v160
	v_sub_u16_e32 v161, v6, v47
	v_lshlrev_b32_e32 v55, 5, v161
	global_load_dwordx4 v[47:50], v55, s[12:13]
	global_load_dwordx4 v[51:54], v55, s[12:13] offset:16
	ds_read_b128 v[55:58], v111
	ds_read_b128 v[71:74], v111 offset:1584
	ds_read_b128 v[75:78], v111 offset:9504
	;; [unrolled: 1-line block ×17, first 2 shown]
	s_mov_b32 s4, 0xe8584caa
	s_mov_b32 s5, 0x3febb67a
	;; [unrolled: 1-line block ×4, first 2 shown]
	s_waitcnt vmcnt(0) lgkmcnt(0)
	s_barrier
	s_movk_i32 s8, 0xf9
	v_mul_f64 v[146:147], v[85:86], v[9:10]
	v_mul_f64 v[144:145], v[77:78], v[13:14]
	;; [unrolled: 1-line block ×4, first 2 shown]
	v_fma_f64 v[75:76], v[75:76], v[11:12], -v[144:145]
	v_fma_f64 v[13:14], v[77:78], v[11:12], v[13:14]
	v_fma_f64 v[77:78], v[83:84], v[7:8], -v[146:147]
	v_fma_f64 v[9:10], v[85:86], v[7:8], v[9:10]
	v_mul_f64 v[142:143], v[109:110], v[17:18]
	v_mul_f64 v[140:141], v[101:102], v[21:22]
	;; [unrolled: 1-line block ×8, first 2 shown]
	v_fma_f64 v[99:100], v[99:100], v[19:20], -v[140:141]
	v_mul_f64 v[11:12], v[105:106], v[37:38]
	v_fma_f64 v[79:80], v[79:80], v[23:24], -v[148:149]
	v_fma_f64 v[23:24], v[81:82], v[23:24], v[25:26]
	v_fma_f64 v[81:82], v[101:102], v[19:20], v[21:22]
	v_mul_f64 v[17:18], v[103:104], v[37:38]
	v_mul_f64 v[19:20], v[114:115], v[33:34]
	;; [unrolled: 1-line block ×3, first 2 shown]
	v_fma_f64 v[25:26], v[87:88], v[27:28], -v[150:151]
	v_fma_f64 v[29:30], v[89:90], v[27:28], v[29:30]
	v_fma_f64 v[37:38], v[107:108], v[15:16], -v[142:143]
	v_mul_f64 v[27:28], v[126:127], v[41:42]
	v_fma_f64 v[33:34], v[109:110], v[15:16], v[7:8]
	v_mul_f64 v[7:8], v[124:125], v[41:42]
	v_fma_f64 v[83:84], v[103:104], v[35:36], -v[11:12]
	v_fma_f64 v[85:86], v[105:106], v[35:36], v[17:18]
	v_mul_f64 v[11:12], v[134:135], v[45:46]
	v_fma_f64 v[87:88], v[112:113], v[31:32], -v[19:20]
	v_fma_f64 v[89:90], v[114:115], v[31:32], v[21:22]
	v_mul_f64 v[15:16], v[132:133], v[45:46]
	v_add_f64 v[17:18], v[75:76], v[77:78]
	v_mul_f64 v[19:20], v[138:139], v[53:54]
	v_mul_f64 v[21:22], v[136:137], v[53:54]
	v_fma_f64 v[101:102], v[124:125], v[39:40], -v[27:28]
	v_fma_f64 v[103:104], v[126:127], v[39:40], v[7:8]
	v_mul_f64 v[7:8], v[130:131], v[49:50]
	v_fma_f64 v[105:106], v[132:133], v[43:44], -v[11:12]
	v_mul_f64 v[11:12], v[128:129], v[49:50]
	v_fma_f64 v[107:108], v[134:135], v[43:44], v[15:16]
	v_add_f64 v[15:16], v[55:56], v[75:76]
	v_fma_f64 v[17:18], v[17:18], -0.5, v[55:56]
	v_add_f64 v[27:28], v[13:14], -v[9:10]
	v_fma_f64 v[114:115], v[136:137], v[51:52], -v[19:20]
	v_fma_f64 v[124:125], v[138:139], v[51:52], v[21:22]
	v_add_f64 v[19:20], v[13:14], v[9:10]
	v_add_f64 v[21:22], v[79:80], v[25:26]
	v_fma_f64 v[109:110], v[128:129], v[47:48], -v[7:8]
	v_fma_f64 v[112:113], v[130:131], v[47:48], v[11:12]
	v_add_f64 v[7:8], v[15:16], v[77:78]
	v_fma_f64 v[11:12], v[27:28], s[4:5], v[17:18]
	v_add_f64 v[13:14], v[57:58], v[13:14]
	v_add_f64 v[31:32], v[75:76], -v[77:78]
	v_fma_f64 v[19:20], v[19:20], -0.5, v[57:58]
	v_fma_f64 v[15:16], v[27:28], s[6:7], v[17:18]
	v_add_f64 v[27:28], v[71:72], v[79:80]
	v_add_f64 v[35:36], v[23:24], v[29:30]
	v_fma_f64 v[21:22], v[21:22], -0.5, v[71:72]
	v_add_f64 v[39:40], v[23:24], -v[29:30]
	v_add_f64 v[41:42], v[99:100], v[37:38]
	v_add_f64 v[9:10], v[13:14], v[9:10]
	v_fma_f64 v[13:14], v[31:32], s[6:7], v[19:20]
	v_fma_f64 v[17:18], v[31:32], s[4:5], v[19:20]
	v_add_f64 v[31:32], v[73:74], v[23:24]
	v_add_f64 v[19:20], v[27:28], v[25:26]
	v_fma_f64 v[35:36], v[35:36], -0.5, v[73:74]
	v_add_f64 v[43:44], v[79:80], -v[25:26]
	v_fma_f64 v[23:24], v[39:40], s[4:5], v[21:22]
	v_fma_f64 v[27:28], v[39:40], s[6:7], v[21:22]
	v_add_f64 v[39:40], v[91:92], v[99:100]
	v_fma_f64 v[41:42], v[41:42], -0.5, v[91:92]
	v_add_f64 v[47:48], v[81:82], -v[33:34]
	v_add_f64 v[21:22], v[31:32], v[29:30]
	v_add_f64 v[45:46], v[81:82], v[33:34]
	v_fma_f64 v[25:26], v[43:44], s[6:7], v[35:36]
	v_add_f64 v[49:50], v[93:94], v[81:82]
	v_fma_f64 v[29:30], v[43:44], s[4:5], v[35:36]
	v_add_f64 v[31:32], v[39:40], v[37:38]
	v_add_f64 v[43:44], v[83:84], v[87:88]
	v_fma_f64 v[35:36], v[47:48], s[4:5], v[41:42]
	v_fma_f64 v[39:40], v[47:48], s[6:7], v[41:42]
	v_add_f64 v[47:48], v[85:86], v[89:90]
	v_add_f64 v[57:58], v[101:102], v[105:106]
	v_fma_f64 v[45:46], v[45:46], -0.5, v[93:94]
	v_add_f64 v[51:52], v[99:100], -v[37:38]
	v_add_f64 v[33:34], v[49:50], v[33:34]
	v_add_f64 v[49:50], v[95:96], v[83:84]
	v_fma_f64 v[53:54], v[43:44], -0.5, v[95:96]
	v_add_f64 v[55:56], v[85:86], -v[89:90]
	v_fma_f64 v[71:72], v[47:48], -0.5, v[97:98]
	v_add_f64 v[73:74], v[83:84], -v[87:88]
	v_add_f64 v[75:76], v[116:117], v[101:102]
	v_fma_f64 v[57:58], v[57:58], -0.5, v[116:117]
	v_add_f64 v[77:78], v[103:104], -v[107:108]
	v_fma_f64 v[37:38], v[51:52], s[6:7], v[45:46]
	v_fma_f64 v[41:42], v[51:52], s[4:5], v[45:46]
	v_add_f64 v[45:46], v[97:98], v[85:86]
	v_add_f64 v[43:44], v[49:50], v[87:88]
	v_fma_f64 v[47:48], v[55:56], s[4:5], v[53:54]
	v_fma_f64 v[51:52], v[55:56], s[6:7], v[53:54]
	;; [unrolled: 1-line block ×3, first 2 shown]
	v_add_f64 v[79:80], v[103:104], v[107:108]
	v_fma_f64 v[53:54], v[73:74], s[4:5], v[71:72]
	v_add_f64 v[55:56], v[75:76], v[105:106]
	v_add_f64 v[73:74], v[109:110], v[114:115]
	v_fma_f64 v[71:72], v[77:78], s[4:5], v[57:58]
	v_fma_f64 v[75:76], v[77:78], s[6:7], v[57:58]
	v_add_f64 v[57:58], v[112:113], v[124:125]
	v_add_f64 v[45:46], v[45:46], v[89:90]
	;; [unrolled: 1-line block ×3, first 2 shown]
	v_fma_f64 v[79:80], v[79:80], -0.5, v[118:119]
	v_add_f64 v[81:82], v[101:102], -v[105:106]
	v_add_f64 v[83:84], v[120:121], v[109:110]
	v_fma_f64 v[85:86], v[73:74], -0.5, v[120:121]
	v_add_f64 v[87:88], v[112:113], -v[124:125]
	v_add_f64 v[89:90], v[122:123], v[112:113]
	;; [unrolled: 3-line block ×3, first 2 shown]
	v_fma_f64 v[73:74], v[81:82], s[6:7], v[79:80]
	v_fma_f64 v[77:78], v[81:82], s[4:5], v[79:80]
	v_add_f64 v[79:80], v[83:84], v[114:115]
	v_fma_f64 v[83:84], v[87:88], s[4:5], v[85:86]
	v_fma_f64 v[87:88], v[87:88], s[6:7], v[85:86]
	v_add_f64 v[81:82], v[89:90], v[124:125]
	v_fma_f64 v[85:86], v[93:94], s[6:7], v[91:92]
	v_fma_f64 v[89:90], v[93:94], s[4:5], v[91:92]
	v_mul_u32_u24_e32 v91, 0x210, v1
	v_mov_b32_e32 v1, 4
	v_lshlrev_b32_sdwa v59, v1, v59 dst_sel:DWORD dst_unused:UNUSED_PAD src0_sel:DWORD src1_sel:BYTE_0
	v_add3_u32 v59, 0, v91, v59
	ds_write_b128 v59, v[7:10]
	ds_write_b128 v59, v[11:14] offset:176
	ds_write_b128 v59, v[15:18] offset:352
	v_mul_u32_u24_e32 v7, 0x210, v154
	v_lshlrev_b32_sdwa v8, v1, v155 dst_sel:DWORD dst_unused:UNUSED_PAD src0_sel:DWORD src1_sel:BYTE_0
	v_add3_u32 v7, 0, v7, v8
	ds_write_b128 v7, v[19:22]
	ds_write_b128 v7, v[23:26] offset:176
	ds_write_b128 v7, v[27:30] offset:352
	v_mul_u32_u24_e32 v7, 0x210, v152
	v_lshlrev_b32_e32 v8, 4, v153
	v_add3_u32 v7, 0, v7, v8
	ds_write_b128 v7, v[31:34]
	ds_write_b128 v7, v[35:38] offset:176
	ds_write_b128 v7, v[39:42] offset:352
	v_mul_u32_u24_e32 v7, 0x210, v156
	v_lshlrev_b32_e32 v8, 4, v157
	;; [unrolled: 6-line block ×4, first 2 shown]
	v_add3_u32 v7, 0, v7, v8
	ds_write_b128 v7, v[79:82]
	ds_write_b128 v7, v[83:86] offset:176
	ds_write_b128 v7, v[87:90] offset:352
	v_mul_lo_u16_sdwa v7, v69, s8 dst_sel:DWORD dst_unused:UNUSED_PAD src0_sel:BYTE_0 src1_sel:DWORD
	v_lshrrev_b16_e32 v59, 13, v7
	v_mul_lo_u16_e32 v7, 33, v59
	v_sub_u16_e32 v144, v69, v7
	v_lshlrev_b32_sdwa v11, v0, v144 dst_sel:DWORD dst_unused:UNUSED_PAD src0_sel:DWORD src1_sel:BYTE_0
	s_waitcnt lgkmcnt(0)
	s_barrier
	global_load_dwordx4 v[7:10], v11, s[12:13] offset:352
	s_nop 0
	global_load_dwordx4 v[11:14], v11, s[12:13] offset:368
	v_mul_lo_u16_sdwa v15, v3, s8 dst_sel:DWORD dst_unused:UNUSED_PAD src0_sel:BYTE_0 src1_sel:DWORD
	v_lshrrev_b16_e32 v145, 13, v15
	v_mul_lo_u16_e32 v15, 33, v145
	v_sub_u16_e32 v146, v3, v15
	v_lshlrev_b32_sdwa v0, v0, v146 dst_sel:DWORD dst_unused:UNUSED_PAD src0_sel:DWORD src1_sel:BYTE_0
	s_mov_b32 s8, 0xf83f
	global_load_dwordx4 v[15:18], v0, s[12:13] offset:368
	global_load_dwordx4 v[19:22], v0, s[12:13] offset:352
	v_mul_u32_u24_sdwa v0, v2, s8 dst_sel:DWORD dst_unused:UNUSED_PAD src0_sel:WORD_0 src1_sel:DWORD
	v_lshrrev_b32_e32 v0, 21, v0
	v_mul_lo_u16_e32 v23, 33, v0
	v_sub_u16_e32 v147, v2, v23
	v_lshlrev_b32_e32 v31, 5, v147
	global_load_dwordx4 v[23:26], v31, s[12:13] offset:352
	global_load_dwordx4 v[27:30], v31, s[12:13] offset:368
	v_mul_u32_u24_sdwa v31, v5, s8 dst_sel:DWORD dst_unused:UNUSED_PAD src0_sel:WORD_0 src1_sel:DWORD
	v_lshrrev_b32_e32 v148, 21, v31
	v_mul_lo_u16_e32 v31, 33, v148
	v_sub_u16_e32 v149, v5, v31
	v_lshlrev_b32_e32 v39, 5, v149
	;; [unrolled: 7-line block ×4, first 2 shown]
	global_load_dwordx4 v[47:50], v55, s[12:13] offset:352
	global_load_dwordx4 v[51:54], v55, s[12:13] offset:368
	ds_read_b128 v[55:58], v111
	ds_read_b128 v[71:74], v111 offset:1584
	ds_read_b128 v[75:78], v111 offset:9504
	;; [unrolled: 1-line block ×17, first 2 shown]
	v_mul_u32_u24_e32 v59, 0x630, v59
	s_waitcnt vmcnt(0) lgkmcnt(0)
	s_barrier
	v_mul_u32_u24_e32 v0, 0x630, v0
	v_lshlrev_b32_e32 v69, 1, v69
	s_mov_b32 s8, 0xa57f
	v_mul_f64 v[140:141], v[77:78], v[9:10]
	v_mul_f64 v[9:10], v[75:76], v[9:10]
	;; [unrolled: 1-line block ×4, first 2 shown]
	v_fma_f64 v[75:76], v[75:76], v[7:8], -v[140:141]
	v_mul_f64 v[140:141], v[81:82], v[21:22]
	v_fma_f64 v[7:8], v[77:78], v[7:8], v[9:10]
	v_mul_f64 v[9:10], v[79:80], v[21:22]
	v_fma_f64 v[21:22], v[83:84], v[11:12], -v[142:143]
	v_mul_f64 v[77:78], v[89:90], v[17:18]
	v_fma_f64 v[13:14], v[85:86], v[11:12], v[13:14]
	v_mul_f64 v[11:12], v[87:88], v[17:18]
	v_mul_f64 v[17:18], v[101:102], v[25:26]
	v_fma_f64 v[79:80], v[79:80], v[19:20], -v[140:141]
	v_mul_f64 v[25:26], v[99:100], v[25:26]
	v_fma_f64 v[19:20], v[81:82], v[19:20], v[9:10]
	v_mul_f64 v[9:10], v[109:110], v[29:30]
	v_fma_f64 v[77:78], v[87:88], v[15:16], -v[77:78]
	v_mul_f64 v[29:30], v[107:108], v[29:30]
	v_fma_f64 v[81:82], v[89:90], v[15:16], v[11:12]
	v_mul_f64 v[11:12], v[105:106], v[33:34]
	v_mul_f64 v[15:16], v[103:104], v[33:34]
	v_fma_f64 v[83:84], v[99:100], v[23:24], -v[17:18]
	v_mul_f64 v[17:18], v[112:113], v[37:38]
	v_fma_f64 v[33:34], v[107:108], v[27:28], -v[9:10]
	v_mul_f64 v[9:10], v[114:115], v[37:38]
	v_fma_f64 v[85:86], v[101:102], v[23:24], v[25:26]
	v_mul_f64 v[23:24], v[126:127], v[41:42]
	v_fma_f64 v[89:90], v[103:104], v[31:32], -v[11:12]
	v_mul_f64 v[11:12], v[124:125], v[41:42]
	v_fma_f64 v[99:100], v[105:106], v[31:32], v[15:16]
	v_mul_f64 v[15:16], v[134:135], v[45:46]
	v_fma_f64 v[87:88], v[109:110], v[27:28], v[29:30]
	v_fma_f64 v[101:102], v[112:113], v[35:36], -v[9:10]
	v_mul_f64 v[9:10], v[132:133], v[45:46]
	v_fma_f64 v[45:46], v[114:115], v[35:36], v[17:18]
	v_mul_f64 v[17:18], v[130:131], v[49:50]
	v_fma_f64 v[105:106], v[126:127], v[39:40], v[11:12]
	v_mul_f64 v[11:12], v[128:129], v[49:50]
	v_fma_f64 v[107:108], v[132:133], v[43:44], -v[15:16]
	v_add_f64 v[15:16], v[75:76], v[21:22]
	v_fma_f64 v[103:104], v[124:125], v[39:40], -v[23:24]
	v_fma_f64 v[109:110], v[134:135], v[43:44], v[9:10]
	v_mul_f64 v[9:10], v[138:139], v[53:54]
	v_mul_f64 v[23:24], v[136:137], v[53:54]
	v_fma_f64 v[112:113], v[128:129], v[47:48], -v[17:18]
	v_add_f64 v[17:18], v[55:56], v[75:76]
	v_fma_f64 v[114:115], v[130:131], v[47:48], v[11:12]
	v_add_f64 v[11:12], v[7:8], v[13:14]
	v_fma_f64 v[15:16], v[15:16], -0.5, v[55:56]
	v_add_f64 v[25:26], v[7:8], -v[13:14]
	v_fma_f64 v[124:125], v[136:137], v[51:52], -v[9:10]
	v_fma_f64 v[126:127], v[138:139], v[51:52], v[23:24]
	v_add_f64 v[9:10], v[57:58], v[7:8]
	v_add_f64 v[7:8], v[17:18], v[21:22]
	;; [unrolled: 1-line block ×3, first 2 shown]
	v_fma_f64 v[23:24], v[11:12], -0.5, v[57:58]
	v_add_f64 v[21:22], v[75:76], -v[21:22]
	v_fma_f64 v[11:12], v[25:26], s[4:5], v[15:16]
	v_fma_f64 v[15:16], v[25:26], s[6:7], v[15:16]
	v_add_f64 v[25:26], v[71:72], v[79:80]
	v_add_f64 v[9:10], v[9:10], v[13:14]
	v_add_f64 v[27:28], v[19:20], v[81:82]
	v_fma_f64 v[29:30], v[17:18], -0.5, v[71:72]
	v_add_f64 v[31:32], v[19:20], -v[81:82]
	v_fma_f64 v[13:14], v[21:22], s[6:7], v[23:24]
	v_fma_f64 v[17:18], v[21:22], s[4:5], v[23:24]
	v_add_f64 v[21:22], v[73:74], v[19:20]
	v_add_f64 v[19:20], v[25:26], v[77:78]
	;; [unrolled: 1-line block ×3, first 2 shown]
	v_fma_f64 v[35:36], v[27:28], -0.5, v[73:74]
	v_add_f64 v[37:38], v[79:80], -v[77:78]
	v_add_f64 v[39:40], v[85:86], v[87:88]
	v_add_f64 v[43:44], v[85:86], -v[87:88]
	v_fma_f64 v[23:24], v[31:32], s[4:5], v[29:30]
	v_fma_f64 v[27:28], v[31:32], s[6:7], v[29:30]
	v_add_f64 v[31:32], v[91:92], v[83:84]
	v_fma_f64 v[41:42], v[25:26], -0.5, v[91:92]
	v_add_f64 v[47:48], v[93:94], v[85:86]
	v_fma_f64 v[25:26], v[37:38], s[6:7], v[35:36]
	v_fma_f64 v[29:30], v[37:38], s[4:5], v[35:36]
	v_add_f64 v[37:38], v[89:90], v[101:102]
	v_fma_f64 v[49:50], v[39:40], -0.5, v[93:94]
	v_add_f64 v[51:52], v[83:84], -v[33:34]
	v_add_f64 v[57:58], v[103:104], v[107:108]
	v_fma_f64 v[35:36], v[43:44], s[4:5], v[41:42]
	v_fma_f64 v[39:40], v[43:44], s[6:7], v[41:42]
	v_add_f64 v[43:44], v[99:100], v[45:46]
	v_add_f64 v[31:32], v[31:32], v[33:34]
	;; [unrolled: 1-line block ×4, first 2 shown]
	v_fma_f64 v[53:54], v[37:38], -0.5, v[95:96]
	v_add_f64 v[55:56], v[99:100], -v[45:46]
	v_fma_f64 v[37:38], v[51:52], s[6:7], v[49:50]
	v_fma_f64 v[41:42], v[51:52], s[4:5], v[49:50]
	v_add_f64 v[49:50], v[97:98], v[99:100]
	v_fma_f64 v[71:72], v[43:44], -0.5, v[97:98]
	v_add_f64 v[73:74], v[89:90], -v[101:102]
	v_add_f64 v[75:76], v[116:117], v[103:104]
	v_fma_f64 v[57:58], v[57:58], -0.5, v[116:117]
	v_add_f64 v[77:78], v[105:106], -v[109:110]
	v_add_f64 v[43:44], v[47:48], v[101:102]
	v_fma_f64 v[47:48], v[55:56], s[4:5], v[53:54]
	v_fma_f64 v[51:52], v[55:56], s[6:7], v[53:54]
	v_add_f64 v[45:46], v[49:50], v[45:46]
	v_fma_f64 v[49:50], v[73:74], s[6:7], v[71:72]
	v_add_f64 v[79:80], v[105:106], v[109:110]
	;; [unrolled: 2-line block ×3, first 2 shown]
	v_add_f64 v[73:74], v[112:113], v[124:125]
	v_fma_f64 v[71:72], v[77:78], s[4:5], v[57:58]
	v_fma_f64 v[75:76], v[77:78], s[6:7], v[57:58]
	v_add_f64 v[57:58], v[114:115], v[126:127]
	v_add_f64 v[21:22], v[21:22], v[81:82]
	;; [unrolled: 1-line block ×3, first 2 shown]
	v_fma_f64 v[79:80], v[79:80], -0.5, v[118:119]
	v_add_f64 v[81:82], v[103:104], -v[107:108]
	v_add_f64 v[83:84], v[120:121], v[112:113]
	v_fma_f64 v[85:86], v[73:74], -0.5, v[120:121]
	v_add_f64 v[87:88], v[114:115], -v[126:127]
	v_add_f64 v[89:90], v[122:123], v[114:115]
	;; [unrolled: 3-line block ×3, first 2 shown]
	v_fma_f64 v[73:74], v[81:82], s[6:7], v[79:80]
	v_fma_f64 v[77:78], v[81:82], s[4:5], v[79:80]
	v_add_f64 v[79:80], v[83:84], v[124:125]
	v_fma_f64 v[83:84], v[87:88], s[4:5], v[85:86]
	v_fma_f64 v[87:88], v[87:88], s[6:7], v[85:86]
	v_add_f64 v[81:82], v[89:90], v[126:127]
	v_fma_f64 v[85:86], v[93:94], s[6:7], v[91:92]
	v_fma_f64 v[89:90], v[93:94], s[4:5], v[91:92]
	v_lshlrev_b32_sdwa v91, v1, v144 dst_sel:DWORD dst_unused:UNUSED_PAD src0_sel:DWORD src1_sel:BYTE_0
	v_add3_u32 v59, 0, v59, v91
	ds_write_b128 v59, v[7:10]
	ds_write_b128 v59, v[11:14] offset:528
	ds_write_b128 v59, v[15:18] offset:1056
	v_mul_u32_u24_e32 v7, 0x630, v145
	v_lshlrev_b32_sdwa v1, v1, v146 dst_sel:DWORD dst_unused:UNUSED_PAD src0_sel:DWORD src1_sel:BYTE_0
	v_add3_u32 v1, 0, v7, v1
	ds_write_b128 v1, v[19:22]
	ds_write_b128 v1, v[23:26] offset:528
	ds_write_b128 v1, v[27:30] offset:1056
	v_lshlrev_b32_e32 v1, 4, v147
	v_add3_u32 v0, 0, v0, v1
	ds_write_b128 v0, v[31:34]
	ds_write_b128 v0, v[35:38] offset:528
	ds_write_b128 v0, v[39:42] offset:1056
	v_mul_u32_u24_e32 v0, 0x630, v148
	v_lshlrev_b32_e32 v1, 4, v149
	v_add3_u32 v0, 0, v0, v1
	ds_write_b128 v0, v[43:46]
	ds_write_b128 v0, v[47:50] offset:528
	ds_write_b128 v0, v[51:54] offset:1056
	v_mul_u32_u24_e32 v0, 0x630, v150
	;; [unrolled: 6-line block ×3, first 2 shown]
	v_lshlrev_b32_e32 v1, 4, v153
	v_add3_u32 v0, 0, v0, v1
	ds_write_b128 v0, v[79:82]
	ds_write_b128 v0, v[83:86] offset:528
	ds_write_b128 v0, v[87:90] offset:1056
	v_lshlrev_b64 v[0:1], 4, v[69:70]
	v_mov_b32_e32 v7, s13
	v_add_co_u32_e32 v0, vcc, s12, v0
	v_addc_co_u32_e32 v1, vcc, v7, v1, vcc
	s_waitcnt lgkmcnt(0)
	s_barrier
	global_load_dwordx4 v[8:11], v[0:1], off offset:1408
	global_load_dwordx4 v[12:15], v[0:1], off offset:1424
	v_mul_u32_u24_sdwa v16, v2, s8 dst_sel:DWORD dst_unused:UNUSED_PAD src0_sel:WORD_0 src1_sel:DWORD
	v_lshrrev_b32_e32 v16, 22, v16
	v_mul_lo_u16_e32 v16, 0x63, v16
	v_sub_u16_e32 v69, v2, v16
	v_lshlrev_b32_e32 v24, 5, v69
	global_load_dwordx4 v[16:19], v24, s[12:13] offset:1408
	global_load_dwordx4 v[20:23], v24, s[12:13] offset:1424
	v_mul_u32_u24_sdwa v24, v5, s8 dst_sel:DWORD dst_unused:UNUSED_PAD src0_sel:WORD_0 src1_sel:DWORD
	v_lshrrev_b32_e32 v24, 22, v24
	v_mul_lo_u16_e32 v24, 0x63, v24
	v_sub_u16_e32 v138, v5, v24
	v_lshlrev_b32_e32 v5, 5, v138
	global_load_dwordx4 v[24:27], v5, s[12:13] offset:1408
	global_load_dwordx4 v[28:31], v5, s[12:13] offset:1424
	;; [unrolled: 7-line block ×4, first 2 shown]
	ds_read_b128 v[48:51], v111
	ds_read_b128 v[52:55], v111 offset:1584
	ds_read_b128 v[56:59], v111 offset:9504
	;; [unrolled: 1-line block ×17, first 2 shown]
	s_waitcnt vmcnt(0) lgkmcnt(0)
	s_barrier
	s_movk_i32 s8, 0x11e0
	v_mul_f64 v[4:5], v[58:59], v[10:11]
	v_mul_f64 v[132:133], v[56:57], v[10:11]
	;; [unrolled: 1-line block ×4, first 2 shown]
	v_fma_f64 v[4:5], v[56:57], v[8:9], -v[4:5]
	v_mul_f64 v[56:57], v[73:74], v[10:11]
	v_fma_f64 v[58:59], v[58:59], v[8:9], v[132:133]
	v_mul_f64 v[10:11], v[71:72], v[10:11]
	v_mul_f64 v[132:133], v[81:82], v[14:15]
	;; [unrolled: 1-line block ×3, first 2 shown]
	v_fma_f64 v[75:76], v[75:76], v[12:13], -v[134:135]
	v_fma_f64 v[77:78], v[77:78], v[12:13], v[136:137]
	v_mul_f64 v[134:135], v[93:94], v[18:19]
	v_fma_f64 v[56:57], v[71:72], v[8:9], -v[56:57]
	v_mul_f64 v[18:19], v[91:92], v[18:19]
	v_fma_f64 v[71:72], v[73:74], v[8:9], v[10:11]
	v_mul_f64 v[8:9], v[101:102], v[22:23]
	v_fma_f64 v[73:74], v[79:80], v[12:13], -v[132:133]
	v_mul_f64 v[10:11], v[99:100], v[22:23]
	v_fma_f64 v[22:23], v[81:82], v[12:13], v[14:15]
	v_mul_f64 v[12:13], v[97:98], v[26:27]
	v_mul_f64 v[14:15], v[95:96], v[26:27]
	v_fma_f64 v[81:82], v[93:94], v[16:17], v[18:19]
	v_fma_f64 v[79:80], v[91:92], v[16:17], -v[134:135]
	v_fma_f64 v[91:92], v[99:100], v[20:21], -v[8:9]
	v_mul_f64 v[8:9], v[105:106], v[30:31]
	v_fma_f64 v[93:94], v[101:102], v[20:21], v[10:11]
	v_mul_f64 v[10:11], v[103:104], v[30:31]
	v_fma_f64 v[95:96], v[95:96], v[24:25], -v[12:13]
	v_mul_f64 v[12:13], v[116:117], v[34:35]
	v_mul_f64 v[16:17], v[118:119], v[34:35]
	v_fma_f64 v[97:98], v[97:98], v[24:25], v[14:15]
	v_mul_f64 v[14:15], v[126:127], v[38:39]
	v_fma_f64 v[99:100], v[103:104], v[28:29], -v[8:9]
	v_mul_f64 v[8:9], v[124:125], v[38:39]
	v_fma_f64 v[101:102], v[105:106], v[28:29], v[10:11]
	v_mul_f64 v[10:11], v[122:123], v[42:43]
	v_fma_f64 v[105:106], v[118:119], v[32:33], v[12:13]
	v_mul_f64 v[12:13], v[120:121], v[42:43]
	v_fma_f64 v[103:104], v[116:117], v[32:33], -v[16:17]
	v_fma_f64 v[116:117], v[124:125], v[36:37], -v[14:15]
	v_add_f64 v[14:15], v[4:5], v[75:76]
	v_mul_f64 v[16:17], v[128:129], v[46:47]
	v_add_f64 v[18:19], v[58:59], -v[77:78]
	v_fma_f64 v[120:121], v[120:121], v[40:41], -v[10:11]
	v_add_f64 v[10:11], v[48:49], v[4:5]
	v_fma_f64 v[122:123], v[122:123], v[40:41], v[12:13]
	v_add_f64 v[12:13], v[58:59], v[77:78]
	v_add_f64 v[4:5], v[4:5], -v[75:76]
	v_fma_f64 v[14:15], v[14:15], -0.5, v[48:49]
	v_fma_f64 v[118:119], v[126:127], v[36:37], v[8:9]
	v_fma_f64 v[126:127], v[130:131], v[44:45], v[16:17]
	v_add_f64 v[24:25], v[56:57], v[73:74]
	v_mul_f64 v[8:9], v[130:131], v[46:47]
	v_add_f64 v[20:21], v[50:51], v[58:59]
	v_fma_f64 v[26:27], v[12:13], -0.5, v[50:51]
	v_add_f64 v[28:29], v[52:53], v[56:57]
	v_fma_f64 v[12:13], v[18:19], s[4:5], v[14:15]
	v_fma_f64 v[16:17], v[18:19], s[6:7], v[14:15]
	v_add_f64 v[30:31], v[71:72], v[22:23]
	v_fma_f64 v[32:33], v[24:25], -0.5, v[52:53]
	v_add_f64 v[34:35], v[71:72], -v[22:23]
	v_fma_f64 v[124:125], v[128:129], v[44:45], -v[8:9]
	v_fma_f64 v[14:15], v[4:5], s[6:7], v[26:27]
	v_fma_f64 v[18:19], v[4:5], s[4:5], v[26:27]
	v_add_f64 v[4:5], v[54:55], v[71:72]
	v_add_f64 v[26:27], v[79:80], v[91:92]
	;; [unrolled: 1-line block ×5, first 2 shown]
	v_fma_f64 v[30:31], v[30:31], -0.5, v[54:55]
	v_add_f64 v[36:37], v[56:57], -v[73:74]
	v_fma_f64 v[24:25], v[34:35], s[4:5], v[32:33]
	v_add_f64 v[22:23], v[4:5], v[22:23]
	v_add_f64 v[4:5], v[81:82], v[93:94]
	v_fma_f64 v[28:29], v[34:35], s[6:7], v[32:33]
	v_fma_f64 v[34:35], v[26:27], -0.5, v[83:84]
	v_add_f64 v[38:39], v[81:82], -v[93:94]
	v_add_f64 v[42:43], v[85:86], v[81:82]
	v_add_f64 v[46:47], v[79:80], -v[91:92]
	v_add_f64 v[44:45], v[95:96], v[99:100]
	v_add_f64 v[48:49], v[97:98], v[101:102]
	v_fma_f64 v[4:5], v[4:5], -0.5, v[85:86]
	v_add_f64 v[56:57], v[103:104], v[116:117]
	v_fma_f64 v[26:27], v[36:37], s[6:7], v[30:31]
	v_fma_f64 v[30:31], v[36:37], s[4:5], v[30:31]
	;; [unrolled: 1-line block ×4, first 2 shown]
	v_add_f64 v[34:35], v[42:43], v[93:94]
	v_add_f64 v[50:51], v[87:88], v[95:96]
	v_fma_f64 v[38:39], v[46:47], s[6:7], v[4:5]
	v_fma_f64 v[42:43], v[46:47], s[4:5], v[4:5]
	v_add_f64 v[4:5], v[89:90], v[97:98]
	v_fma_f64 v[52:53], v[44:45], -0.5, v[87:88]
	v_add_f64 v[54:55], v[97:98], -v[101:102]
	v_fma_f64 v[58:59], v[48:49], -0.5, v[89:90]
	v_add_f64 v[71:72], v[95:96], -v[99:100]
	v_add_f64 v[73:74], v[107:108], v[103:104]
	v_fma_f64 v[75:76], v[56:57], -0.5, v[107:108]
	v_add_f64 v[77:78], v[105:106], -v[118:119]
	v_add_f64 v[46:47], v[4:5], v[101:102]
	v_add_f64 v[4:5], v[105:106], v[118:119]
	;; [unrolled: 1-line block ×4, first 2 shown]
	v_fma_f64 v[48:49], v[54:55], s[4:5], v[52:53]
	v_fma_f64 v[52:53], v[54:55], s[6:7], v[52:53]
	;; [unrolled: 1-line block ×4, first 2 shown]
	v_add_f64 v[56:57], v[73:74], v[116:117]
	v_add_f64 v[58:59], v[120:121], v[124:125]
	;; [unrolled: 1-line block ×3, first 2 shown]
	v_fma_f64 v[71:72], v[77:78], s[4:5], v[75:76]
	v_fma_f64 v[75:76], v[77:78], s[6:7], v[75:76]
	v_add_f64 v[77:78], v[109:110], v[105:106]
	v_fma_f64 v[4:5], v[4:5], -0.5, v[109:110]
	v_add_f64 v[79:80], v[103:104], -v[116:117]
	v_add_f64 v[81:82], v[112:113], v[120:121]
	v_add_f64 v[89:90], v[114:115], v[122:123]
	;; [unrolled: 1-line block ×3, first 2 shown]
	v_fma_f64 v[85:86], v[58:59], -0.5, v[112:113]
	v_add_f64 v[87:88], v[122:123], -v[126:127]
	v_fma_f64 v[91:92], v[73:74], -0.5, v[114:115]
	v_add_f64 v[93:94], v[120:121], -v[124:125]
	v_add_f64 v[58:59], v[77:78], v[118:119]
	v_fma_f64 v[73:74], v[79:80], s[6:7], v[4:5]
	v_fma_f64 v[77:78], v[79:80], s[4:5], v[4:5]
	v_add_f64 v[79:80], v[81:82], v[124:125]
	v_add_f64 v[81:82], v[89:90], v[126:127]
	v_fma_f64 v[83:84], v[87:88], s[4:5], v[85:86]
	v_fma_f64 v[87:88], v[87:88], s[6:7], v[85:86]
	v_fma_f64 v[85:86], v[93:94], s[6:7], v[91:92]
	v_fma_f64 v[89:90], v[93:94], s[4:5], v[91:92]
	v_lshl_add_u32 v4, v69, 4, 0
	ds_write_b128 v111, v[8:11]
	ds_write_b128 v111, v[12:15] offset:1584
	ds_write_b128 v111, v[16:19] offset:3168
	;; [unrolled: 1-line block ×8, first 2 shown]
	v_lshl_add_u32 v4, v138, 4, 0
	ds_write_b128 v4, v[44:47] offset:14256
	ds_write_b128 v4, v[48:51] offset:15840
	ds_write_b128 v4, v[52:55] offset:17424
	v_lshl_add_u32 v4, v139, 4, 0
	ds_write_b128 v4, v[56:59] offset:19008
	ds_write_b128 v4, v[71:74] offset:20592
	ds_write_b128 v4, v[75:78] offset:22176
	v_lshl_add_u32 v4, v6, 4, 0
	ds_write_b128 v4, v[79:82] offset:23760
	ds_write_b128 v4, v[83:86] offset:25344
	ds_write_b128 v4, v[87:90] offset:26928
	v_add_co_u32_e32 v4, vcc, s8, v0
	v_addc_co_u32_e32 v5, vcc, 0, v1, vcc
	v_add_co_u32_e32 v0, vcc, s42, v0
	v_addc_co_u32_e32 v1, vcc, 0, v1, vcc
	v_lshlrev_b32_e32 v69, 1, v3
	s_waitcnt lgkmcnt(0)
	s_barrier
	global_load_dwordx4 v[8:11], v[0:1], off offset:480
	global_load_dwordx4 v[12:15], v[4:5], off offset:16
	v_lshlrev_b64 v[0:1], 4, v[69:70]
	v_lshlrev_b32_e32 v69, 1, v2
	v_add_co_u32_e32 v3, vcc, s12, v0
	v_addc_co_u32_e32 v4, vcc, v7, v1, vcc
	v_add_co_u32_e32 v0, vcc, s8, v3
	v_addc_co_u32_e32 v1, vcc, 0, v4, vcc
	;; [unrolled: 2-line block ×3, first 2 shown]
	global_load_dwordx4 v[3:6], v[20:21], off offset:480
	global_load_dwordx4 v[16:19], v[0:1], off offset:16
	v_lshlrev_b64 v[0:1], 4, v[69:70]
	v_add_co_u32_e32 v2, vcc, s12, v0
	v_addc_co_u32_e32 v24, vcc, v7, v1, vcc
	v_add_co_u32_e32 v0, vcc, s42, v2
	v_addc_co_u32_e32 v1, vcc, 0, v24, vcc
	global_load_dwordx4 v[20:23], v[0:1], off offset:480
	v_add_co_u32_e32 v0, vcc, s8, v2
	v_addc_co_u32_e32 v1, vcc, 0, v24, vcc
	global_load_dwordx4 v[24:27], v[0:1], off offset:16
	ds_read_b128 v[28:31], v111
	ds_read_b128 v[32:35], v111 offset:1584
	ds_read_b128 v[36:39], v111 offset:9504
	;; [unrolled: 1-line block ×17, first 2 shown]
	s_waitcnt vmcnt(0) lgkmcnt(0)
	s_barrier
	v_mul_f64 v[0:1], v[38:39], v[10:11]
	v_mul_f64 v[109:110], v[36:37], v[10:11]
	;; [unrolled: 1-line block ×4, first 2 shown]
	v_fma_f64 v[36:37], v[36:37], v[8:9], -v[0:1]
	v_fma_f64 v[38:39], v[38:39], v[8:9], v[109:110]
	v_fma_f64 v[44:45], v[44:45], v[12:13], -v[112:113]
	v_fma_f64 v[46:47], v[46:47], v[12:13], v[114:115]
	v_mul_f64 v[0:1], v[42:43], v[5:6]
	v_mul_f64 v[109:110], v[40:41], v[5:6]
	v_mul_f64 v[112:113], v[50:51], v[18:19]
	v_mul_f64 v[114:115], v[48:49], v[18:19]
	v_fma_f64 v[40:41], v[40:41], v[3:4], -v[0:1]
	v_fma_f64 v[42:43], v[42:43], v[3:4], v[109:110]
	v_fma_f64 v[48:49], v[48:49], v[16:17], -v[112:113]
	v_fma_f64 v[50:51], v[50:51], v[16:17], v[114:115]
	v_mul_f64 v[0:1], v[69:70], v[22:23]
	v_mul_f64 v[116:117], v[71:72], v[22:23]
	;; [unrolled: 1-line block ×5, first 2 shown]
	v_fma_f64 v[71:72], v[71:72], v[20:21], v[0:1]
	v_mul_f64 v[0:1], v[73:74], v[10:11]
	v_mul_f64 v[10:11], v[83:84], v[14:15]
	;; [unrolled: 1-line block ×3, first 2 shown]
	v_fma_f64 v[69:70], v[69:70], v[20:21], -v[116:117]
	v_fma_f64 v[77:78], v[77:78], v[24:25], -v[109:110]
	v_mul_f64 v[109:110], v[95:96], v[5:6]
	v_mul_f64 v[5:6], v[93:94], v[5:6]
	v_fma_f64 v[73:74], v[73:74], v[8:9], -v[114:115]
	v_fma_f64 v[75:76], v[75:76], v[8:9], v[0:1]
	v_mul_f64 v[0:1], v[103:104], v[18:19]
	v_fma_f64 v[81:82], v[81:82], v[12:13], -v[10:11]
	v_mul_f64 v[10:11], v[99:100], v[22:23]
	v_mul_f64 v[8:9], v[101:102], v[18:19]
	v_fma_f64 v[93:94], v[93:94], v[3:4], -v[109:110]
	v_fma_f64 v[4:5], v[95:96], v[3:4], v[5:6]
	v_mul_f64 v[2:3], v[97:98], v[22:23]
	v_add_f64 v[18:19], v[30:31], v[38:39]
	v_fma_f64 v[95:96], v[101:102], v[16:17], -v[0:1]
	v_add_f64 v[0:1], v[36:37], v[44:45]
	v_fma_f64 v[97:98], v[97:98], v[20:21], -v[10:11]
	v_add_f64 v[10:11], v[28:29], v[36:37]
	v_fma_f64 v[79:80], v[79:80], v[24:25], v[112:113]
	v_fma_f64 v[83:84], v[83:84], v[12:13], v[14:15]
	;; [unrolled: 1-line block ×3, first 2 shown]
	v_add_f64 v[2:3], v[38:39], v[46:47]
	v_fma_f64 v[101:102], v[103:104], v[16:17], v[8:9]
	v_mul_f64 v[8:9], v[107:108], v[26:27]
	v_mul_f64 v[12:13], v[105:106], v[26:27]
	v_fma_f64 v[14:15], v[0:1], -0.5, v[28:29]
	v_add_f64 v[16:17], v[38:39], -v[46:47]
	v_add_f64 v[0:1], v[10:11], v[44:45]
	v_add_f64 v[10:11], v[40:41], v[48:49]
	v_fma_f64 v[20:21], v[2:3], -0.5, v[30:31]
	v_add_f64 v[22:23], v[36:37], -v[44:45]
	v_add_f64 v[2:3], v[18:19], v[46:47]
	v_add_f64 v[18:19], v[42:43], v[50:51]
	;; [unrolled: 1-line block ×3, first 2 shown]
	v_fma_f64 v[103:104], v[105:106], v[24:25], -v[8:9]
	v_fma_f64 v[105:106], v[107:108], v[24:25], v[12:13]
	v_fma_f64 v[8:9], v[16:17], s[4:5], v[14:15]
	;; [unrolled: 1-line block ×3, first 2 shown]
	v_add_f64 v[16:17], v[32:33], v[40:41]
	v_fma_f64 v[24:25], v[10:11], -0.5, v[32:33]
	v_add_f64 v[26:27], v[42:43], -v[50:51]
	v_fma_f64 v[10:11], v[22:23], s[6:7], v[20:21]
	v_fma_f64 v[14:15], v[22:23], s[4:5], v[20:21]
	v_add_f64 v[22:23], v[34:35], v[42:43]
	v_fma_f64 v[30:31], v[18:19], -0.5, v[34:35]
	v_add_f64 v[32:33], v[40:41], -v[48:49]
	v_add_f64 v[34:35], v[52:53], v[69:70]
	v_add_f64 v[36:37], v[71:72], v[79:80]
	v_fma_f64 v[38:39], v[28:29], -0.5, v[52:53]
	v_add_f64 v[40:41], v[71:72], -v[79:80]
	v_fma_f64 v[20:21], v[26:27], s[4:5], v[24:25]
	v_fma_f64 v[24:25], v[26:27], s[6:7], v[24:25]
	v_add_f64 v[18:19], v[22:23], v[50:51]
	v_fma_f64 v[22:23], v[32:33], s[6:7], v[30:31]
	v_add_f64 v[42:43], v[54:55], v[71:72]
	;; [unrolled: 2-line block ×3, first 2 shown]
	v_add_f64 v[34:35], v[73:74], v[81:82]
	v_fma_f64 v[44:45], v[36:37], -0.5, v[54:55]
	v_add_f64 v[46:47], v[69:70], -v[77:78]
	v_fma_f64 v[32:33], v[40:41], s[4:5], v[38:39]
	v_fma_f64 v[36:37], v[40:41], s[6:7], v[38:39]
	v_add_f64 v[40:41], v[75:76], v[83:84]
	v_add_f64 v[16:17], v[16:17], v[48:49]
	;; [unrolled: 1-line block ×4, first 2 shown]
	v_fma_f64 v[48:49], v[34:35], -0.5, v[56:57]
	v_add_f64 v[50:51], v[75:76], -v[83:84]
	v_fma_f64 v[34:35], v[46:47], s[6:7], v[44:45]
	v_add_f64 v[52:53], v[93:94], v[95:96]
	v_fma_f64 v[38:39], v[46:47], s[4:5], v[44:45]
	v_add_f64 v[46:47], v[58:59], v[75:76]
	v_fma_f64 v[54:55], v[40:41], -0.5, v[58:59]
	v_add_f64 v[56:57], v[73:74], -v[81:82]
	v_add_f64 v[58:59], v[85:86], v[93:94]
	v_add_f64 v[40:41], v[42:43], v[81:82]
	v_fma_f64 v[44:45], v[50:51], s[4:5], v[48:49]
	v_fma_f64 v[69:70], v[52:53], -0.5, v[85:86]
	v_add_f64 v[71:72], v[4:5], -v[101:102]
	v_fma_f64 v[48:49], v[50:51], s[6:7], v[48:49]
	v_add_f64 v[42:43], v[46:47], v[83:84]
	v_fma_f64 v[46:47], v[56:57], s[6:7], v[54:55]
	v_add_f64 v[73:74], v[4:5], v[101:102]
	v_fma_f64 v[50:51], v[56:57], s[4:5], v[54:55]
	v_add_f64 v[52:53], v[58:59], v[95:96]
	v_add_f64 v[54:55], v[97:98], v[103:104]
	v_add_f64 v[58:59], v[99:100], v[105:106]
	v_fma_f64 v[56:57], v[71:72], s[4:5], v[69:70]
	v_fma_f64 v[69:70], v[71:72], s[6:7], v[69:70]
	v_add_f64 v[4:5], v[87:88], v[4:5]
	v_fma_f64 v[71:72], v[73:74], -0.5, v[87:88]
	v_add_f64 v[73:74], v[93:94], -v[95:96]
	v_add_f64 v[75:76], v[89:90], v[97:98]
	v_fma_f64 v[79:80], v[54:55], -0.5, v[89:90]
	v_add_f64 v[81:82], v[99:100], -v[105:106]
	;; [unrolled: 3-line block ×3, first 2 shown]
	v_add_f64 v[54:55], v[4:5], v[101:102]
	v_fma_f64 v[58:59], v[73:74], s[6:7], v[71:72]
	v_fma_f64 v[71:72], v[73:74], s[4:5], v[71:72]
	v_add_f64 v[73:74], v[75:76], v[103:104]
	v_fma_f64 v[77:78], v[81:82], s[4:5], v[79:80]
	v_fma_f64 v[81:82], v[81:82], s[6:7], v[79:80]
	;; [unrolled: 3-line block ×3, first 2 shown]
	ds_write_b128 v111, v[0:3]
	ds_write_b128 v111, v[8:11] offset:4752
	ds_write_b128 v111, v[12:15] offset:9504
	;; [unrolled: 1-line block ×17, first 2 shown]
	v_add_co_u32_e32 v0, vcc, s12, v65
	v_addc_co_u32_e32 v1, vcc, v7, v66, vcc
	v_add_co_u32_e32 v0, vcc, s33, v0
	v_addc_co_u32_e32 v1, vcc, 0, v1, vcc
	;; [unrolled: 2-line block ×4, first 2 shown]
	s_waitcnt lgkmcnt(0)
	s_barrier
	global_load_dwordx4 v[0:3], v[0:1], off offset:1792
	s_movk_i32 s4, 0x4000
	global_load_dwordx4 v[4:7], v[4:5], off offset:3376
	v_add_co_u32_e32 v20, vcc, s4, v30
	v_addc_co_u32_e32 v21, vcc, 0, v31, vcc
	global_load_dwordx4 v[8:11], v[20:21], off offset:864
	global_load_dwordx4 v[12:15], v[20:21], off offset:2448
	global_load_dwordx4 v[16:19], v[20:21], off offset:4032
	s_movk_i32 s4, 0x5000
	v_add_co_u32_e32 v28, vcc, s4, v30
	v_addc_co_u32_e32 v29, vcc, 0, v31, vcc
	s_movk_i32 s4, 0x6000
	v_add_co_u32_e32 v36, vcc, s4, v30
	v_addc_co_u32_e32 v37, vcc, 0, v31, vcc
	global_load_dwordx4 v[20:23], v[28:29], off offset:1520
	global_load_dwordx4 v[24:27], v[28:29], off offset:3104
	s_nop 0
	global_load_dwordx4 v[28:31], v[36:37], off offset:592
	global_load_dwordx4 v[32:35], v[36:37], off offset:2176
	ds_read_b128 v[36:39], v111 offset:14256
	ds_read_b128 v[40:43], v111
	ds_read_b128 v[44:47], v111 offset:1584
	ds_read_b128 v[48:51], v111 offset:15840
	;; [unrolled: 1-line block ×16, first 2 shown]
	s_waitcnt vmcnt(0) lgkmcnt(0)
	s_barrier
	v_mul_f64 v[109:110], v[38:39], v[2:3]
	v_mul_f64 v[2:3], v[36:37], v[2:3]
	;; [unrolled: 1-line block ×4, first 2 shown]
	v_fma_f64 v[36:37], v[36:37], v[0:1], -v[109:110]
	v_fma_f64 v[2:3], v[38:39], v[0:1], v[2:3]
	v_fma_f64 v[38:39], v[48:49], v[4:5], -v[116:117]
	v_fma_f64 v[48:49], v[50:51], v[4:5], v[6:7]
	v_mul_f64 v[0:1], v[54:55], v[10:11]
	v_mul_f64 v[4:5], v[52:53], v[10:11]
	;; [unrolled: 1-line block ×8, first 2 shown]
	v_fma_f64 v[52:53], v[52:53], v[8:9], -v[0:1]
	v_fma_f64 v[54:55], v[54:55], v[8:9], v[4:5]
	v_fma_f64 v[69:70], v[69:70], v[12:13], -v[6:7]
	v_fma_f64 v[71:72], v[71:72], v[12:13], v[10:11]
	v_fma_f64 v[73:74], v[73:74], v[16:17], -v[14:15]
	v_mul_f64 v[4:5], v[91:92], v[26:27]
	v_mul_f64 v[6:7], v[89:90], v[26:27]
	;; [unrolled: 1-line block ×6, first 2 shown]
	v_fma_f64 v[75:76], v[75:76], v[16:17], v[18:19]
	v_fma_f64 v[50:51], v[85:86], v[20:21], -v[50:51]
	v_fma_f64 v[85:86], v[87:88], v[20:21], v[22:23]
	v_add_f64 v[0:1], v[40:41], -v[36:37]
	v_add_f64 v[2:3], v[42:43], -v[2:3]
	v_fma_f64 v[87:88], v[89:90], v[24:25], -v[4:5]
	v_fma_f64 v[89:90], v[91:92], v[24:25], v[6:7]
	v_fma_f64 v[91:92], v[105:106], v[28:29], -v[8:9]
	v_fma_f64 v[105:106], v[107:108], v[28:29], v[10:11]
	;; [unrolled: 2-line block ×3, first 2 shown]
	v_add_f64 v[8:9], v[44:45], -v[38:39]
	v_add_f64 v[10:11], v[46:47], -v[48:49]
	;; [unrolled: 1-line block ×6, first 2 shown]
	v_fma_f64 v[4:5], v[40:41], 2.0, -v[0:1]
	v_fma_f64 v[6:7], v[42:43], 2.0, -v[2:3]
	v_add_f64 v[20:21], v[77:78], -v[73:74]
	v_add_f64 v[22:23], v[79:80], -v[75:76]
	v_fma_f64 v[24:25], v[44:45], 2.0, -v[8:9]
	v_fma_f64 v[26:27], v[46:47], 2.0, -v[10:11]
	v_add_f64 v[40:41], v[81:82], -v[50:51]
	v_add_f64 v[42:43], v[83:84], -v[85:86]
	;; [unrolled: 1-line block ×8, first 2 shown]
	v_fma_f64 v[28:29], v[56:57], 2.0, -v[12:13]
	v_fma_f64 v[30:31], v[58:59], 2.0, -v[14:15]
	;; [unrolled: 1-line block ×14, first 2 shown]
	ds_write_b128 v111, v[4:7]
	ds_write_b128 v111, v[0:3] offset:14256
	ds_write_b128 v111, v[24:27] offset:1584
	ds_write_b128 v111, v[8:11] offset:15840
	ds_write_b128 v111, v[28:31] offset:3168
	ds_write_b128 v111, v[12:15] offset:17424
	ds_write_b128 v111, v[32:35] offset:4752
	ds_write_b128 v111, v[16:19] offset:19008
	ds_write_b128 v111, v[36:39] offset:6336
	ds_write_b128 v111, v[20:23] offset:20592
	ds_write_b128 v111, v[56:59] offset:7920
	ds_write_b128 v111, v[40:43] offset:22176
	ds_write_b128 v111, v[65:68] offset:9504
	ds_write_b128 v111, v[44:47] offset:23760
	ds_write_b128 v111, v[69:72] offset:11088
	ds_write_b128 v111, v[48:51] offset:25344
	ds_write_b128 v111, v[73:76] offset:12672
	ds_write_b128 v111, v[52:55] offset:26928
	s_waitcnt lgkmcnt(0)
	s_barrier
	s_and_saveexec_b64 s[4:5], s[0:1]
	s_cbranch_execz .LBB0_23
; %bb.22:
	v_mul_lo_u32 v0, s3, v62
	v_mul_lo_u32 v1, s2, v63
	v_mad_u64_u32 v[4:5], s[0:1], s2, v62, 0
	v_mov_b32_e32 v6, s11
	v_lshl_add_u32 v10, v64, 4, 0
	v_add3_u32 v5, v5, v1, v0
	v_lshlrev_b64 v[4:5], 4, v[4:5]
	v_mov_b32_e32 v65, 0
	v_add_co_u32_e32 v7, vcc, s10, v4
	v_addc_co_u32_e32 v6, vcc, v6, v5, vcc
	v_lshlrev_b64 v[4:5], 4, v[60:61]
	ds_read_b128 v[0:3], v10
	v_add_co_u32_e32 v11, vcc, v7, v4
	v_addc_co_u32_e32 v12, vcc, v6, v5, vcc
	v_lshlrev_b64 v[4:5], 4, v[64:65]
	v_add_co_u32_e32 v8, vcc, v11, v4
	v_addc_co_u32_e32 v9, vcc, v12, v5, vcc
	ds_read_b128 v[4:7], v10 offset:1584
	s_waitcnt lgkmcnt(1)
	global_store_dwordx4 v[8:9], v[0:3], off
	s_nop 0
	v_add_u32_e32 v0, 0x63, v64
	v_mov_b32_e32 v1, v65
	v_lshlrev_b64 v[0:1], 4, v[0:1]
	v_add_co_u32_e32 v0, vcc, v11, v0
	v_addc_co_u32_e32 v1, vcc, v12, v1, vcc
	s_waitcnt lgkmcnt(0)
	global_store_dwordx4 v[0:1], v[4:7], off
	ds_read_b128 v[0:3], v10 offset:3168
	v_add_u32_e32 v4, 0xc6, v64
	v_mov_b32_e32 v5, v65
	v_lshlrev_b64 v[4:5], 4, v[4:5]
	v_add_co_u32_e32 v8, vcc, v11, v4
	v_addc_co_u32_e32 v9, vcc, v12, v5, vcc
	ds_read_b128 v[4:7], v10 offset:4752
	s_waitcnt lgkmcnt(1)
	global_store_dwordx4 v[8:9], v[0:3], off
	s_nop 0
	v_add_u32_e32 v0, 0x129, v64
	v_mov_b32_e32 v1, v65
	v_lshlrev_b64 v[0:1], 4, v[0:1]
	v_add_co_u32_e32 v0, vcc, v11, v0
	v_addc_co_u32_e32 v1, vcc, v12, v1, vcc
	s_waitcnt lgkmcnt(0)
	global_store_dwordx4 v[0:1], v[4:7], off
	ds_read_b128 v[0:3], v10 offset:6336
	v_add_u32_e32 v4, 0x18c, v64
	v_mov_b32_e32 v5, v65
	;; [unrolled: 17-line block ×8, first 2 shown]
	v_lshlrev_b64 v[4:5], 4, v[4:5]
	v_add_u32_e32 v64, 0x693, v64
	v_add_co_u32_e32 v8, vcc, v11, v4
	v_addc_co_u32_e32 v9, vcc, v12, v5, vcc
	ds_read_b128 v[4:7], v10 offset:26928
	s_waitcnt lgkmcnt(1)
	global_store_dwordx4 v[8:9], v[0:3], off
	s_nop 0
	v_lshlrev_b64 v[0:1], 4, v[64:65]
	v_add_co_u32_e32 v0, vcc, v11, v0
	v_addc_co_u32_e32 v1, vcc, v12, v1, vcc
	s_waitcnt lgkmcnt(0)
	global_store_dwordx4 v[0:1], v[4:7], off
.LBB0_23:
	s_endpgm
	.section	.rodata,"a",@progbits
	.p2align	6, 0x0
	.amdhsa_kernel fft_rtc_fwd_len1782_factors_11_3_3_3_3_2_wgs_99_tpt_99_halfLds_dp_op_CI_CI_unitstride_sbrr_C2R_dirReg
		.amdhsa_group_segment_fixed_size 0
		.amdhsa_private_segment_fixed_size 0
		.amdhsa_kernarg_size 104
		.amdhsa_user_sgpr_count 6
		.amdhsa_user_sgpr_private_segment_buffer 1
		.amdhsa_user_sgpr_dispatch_ptr 0
		.amdhsa_user_sgpr_queue_ptr 0
		.amdhsa_user_sgpr_kernarg_segment_ptr 1
		.amdhsa_user_sgpr_dispatch_id 0
		.amdhsa_user_sgpr_flat_scratch_init 0
		.amdhsa_user_sgpr_private_segment_size 0
		.amdhsa_uses_dynamic_stack 0
		.amdhsa_system_sgpr_private_segment_wavefront_offset 0
		.amdhsa_system_sgpr_workgroup_id_x 1
		.amdhsa_system_sgpr_workgroup_id_y 0
		.amdhsa_system_sgpr_workgroup_id_z 0
		.amdhsa_system_sgpr_workgroup_info 0
		.amdhsa_system_vgpr_workitem_id 0
		.amdhsa_next_free_vgpr 234
		.amdhsa_next_free_sgpr 43
		.amdhsa_reserve_vcc 1
		.amdhsa_reserve_flat_scratch 0
		.amdhsa_float_round_mode_32 0
		.amdhsa_float_round_mode_16_64 0
		.amdhsa_float_denorm_mode_32 3
		.amdhsa_float_denorm_mode_16_64 3
		.amdhsa_dx10_clamp 1
		.amdhsa_ieee_mode 1
		.amdhsa_fp16_overflow 0
		.amdhsa_exception_fp_ieee_invalid_op 0
		.amdhsa_exception_fp_denorm_src 0
		.amdhsa_exception_fp_ieee_div_zero 0
		.amdhsa_exception_fp_ieee_overflow 0
		.amdhsa_exception_fp_ieee_underflow 0
		.amdhsa_exception_fp_ieee_inexact 0
		.amdhsa_exception_int_div_zero 0
	.end_amdhsa_kernel
	.text
.Lfunc_end0:
	.size	fft_rtc_fwd_len1782_factors_11_3_3_3_3_2_wgs_99_tpt_99_halfLds_dp_op_CI_CI_unitstride_sbrr_C2R_dirReg, .Lfunc_end0-fft_rtc_fwd_len1782_factors_11_3_3_3_3_2_wgs_99_tpt_99_halfLds_dp_op_CI_CI_unitstride_sbrr_C2R_dirReg
                                        ; -- End function
	.section	.AMDGPU.csdata,"",@progbits
; Kernel info:
; codeLenInByte = 17412
; NumSgprs: 47
; NumVgprs: 234
; ScratchSize: 0
; MemoryBound: 0
; FloatMode: 240
; IeeeMode: 1
; LDSByteSize: 0 bytes/workgroup (compile time only)
; SGPRBlocks: 5
; VGPRBlocks: 58
; NumSGPRsForWavesPerEU: 47
; NumVGPRsForWavesPerEU: 234
; Occupancy: 1
; WaveLimiterHint : 1
; COMPUTE_PGM_RSRC2:SCRATCH_EN: 0
; COMPUTE_PGM_RSRC2:USER_SGPR: 6
; COMPUTE_PGM_RSRC2:TRAP_HANDLER: 0
; COMPUTE_PGM_RSRC2:TGID_X_EN: 1
; COMPUTE_PGM_RSRC2:TGID_Y_EN: 0
; COMPUTE_PGM_RSRC2:TGID_Z_EN: 0
; COMPUTE_PGM_RSRC2:TIDIG_COMP_CNT: 0
	.type	__hip_cuid_5e94d357c3db611f,@object ; @__hip_cuid_5e94d357c3db611f
	.section	.bss,"aw",@nobits
	.globl	__hip_cuid_5e94d357c3db611f
__hip_cuid_5e94d357c3db611f:
	.byte	0                               ; 0x0
	.size	__hip_cuid_5e94d357c3db611f, 1

	.ident	"AMD clang version 19.0.0git (https://github.com/RadeonOpenCompute/llvm-project roc-6.4.0 25133 c7fe45cf4b819c5991fe208aaa96edf142730f1d)"
	.section	".note.GNU-stack","",@progbits
	.addrsig
	.addrsig_sym __hip_cuid_5e94d357c3db611f
	.amdgpu_metadata
---
amdhsa.kernels:
  - .args:
      - .actual_access:  read_only
        .address_space:  global
        .offset:         0
        .size:           8
        .value_kind:     global_buffer
      - .offset:         8
        .size:           8
        .value_kind:     by_value
      - .actual_access:  read_only
        .address_space:  global
        .offset:         16
        .size:           8
        .value_kind:     global_buffer
      - .actual_access:  read_only
        .address_space:  global
        .offset:         24
        .size:           8
        .value_kind:     global_buffer
      - .actual_access:  read_only
        .address_space:  global
        .offset:         32
        .size:           8
        .value_kind:     global_buffer
      - .offset:         40
        .size:           8
        .value_kind:     by_value
      - .actual_access:  read_only
        .address_space:  global
        .offset:         48
        .size:           8
        .value_kind:     global_buffer
      - .actual_access:  read_only
        .address_space:  global
        .offset:         56
        .size:           8
        .value_kind:     global_buffer
      - .offset:         64
        .size:           4
        .value_kind:     by_value
      - .actual_access:  read_only
        .address_space:  global
        .offset:         72
        .size:           8
        .value_kind:     global_buffer
      - .actual_access:  read_only
        .address_space:  global
        .offset:         80
        .size:           8
        .value_kind:     global_buffer
      - .actual_access:  read_only
        .address_space:  global
        .offset:         88
        .size:           8
        .value_kind:     global_buffer
      - .actual_access:  write_only
        .address_space:  global
        .offset:         96
        .size:           8
        .value_kind:     global_buffer
    .group_segment_fixed_size: 0
    .kernarg_segment_align: 8
    .kernarg_segment_size: 104
    .language:       OpenCL C
    .language_version:
      - 2
      - 0
    .max_flat_workgroup_size: 99
    .name:           fft_rtc_fwd_len1782_factors_11_3_3_3_3_2_wgs_99_tpt_99_halfLds_dp_op_CI_CI_unitstride_sbrr_C2R_dirReg
    .private_segment_fixed_size: 0
    .sgpr_count:     47
    .sgpr_spill_count: 0
    .symbol:         fft_rtc_fwd_len1782_factors_11_3_3_3_3_2_wgs_99_tpt_99_halfLds_dp_op_CI_CI_unitstride_sbrr_C2R_dirReg.kd
    .uniform_work_group_size: 1
    .uses_dynamic_stack: false
    .vgpr_count:     234
    .vgpr_spill_count: 0
    .wavefront_size: 64
amdhsa.target:   amdgcn-amd-amdhsa--gfx906
amdhsa.version:
  - 1
  - 2
...

	.end_amdgpu_metadata
